;; amdgpu-corpus repo=ROCm/rocFFT kind=compiled arch=gfx906 opt=O3
	.text
	.amdgcn_target "amdgcn-amd-amdhsa--gfx906"
	.amdhsa_code_object_version 6
	.protected	fft_rtc_back_len1600_factors_10_16_10_wgs_200_tpt_100_halfLds_half_ip_CI_unitstride_sbrr_R2C_dirReg ; -- Begin function fft_rtc_back_len1600_factors_10_16_10_wgs_200_tpt_100_halfLds_half_ip_CI_unitstride_sbrr_R2C_dirReg
	.globl	fft_rtc_back_len1600_factors_10_16_10_wgs_200_tpt_100_halfLds_half_ip_CI_unitstride_sbrr_R2C_dirReg
	.p2align	8
	.type	fft_rtc_back_len1600_factors_10_16_10_wgs_200_tpt_100_halfLds_half_ip_CI_unitstride_sbrr_R2C_dirReg,@function
fft_rtc_back_len1600_factors_10_16_10_wgs_200_tpt_100_halfLds_half_ip_CI_unitstride_sbrr_R2C_dirReg: ; @fft_rtc_back_len1600_factors_10_16_10_wgs_200_tpt_100_halfLds_half_ip_CI_unitstride_sbrr_R2C_dirReg
; %bb.0:
	s_load_dwordx2 s[12:13], s[4:5], 0x50
	s_load_dwordx4 s[8:11], s[4:5], 0x0
	s_load_dwordx2 s[2:3], s[4:5], 0x18
	v_mul_u32_u24_e32 v1, 0x290, v0
	v_lshrrev_b32_e32 v9, 16, v1
	v_mov_b32_e32 v3, 0
	s_waitcnt lgkmcnt(0)
	v_cmp_lt_u64_e64 s[0:1], s[10:11], 2
	v_mov_b32_e32 v1, 0
	v_lshl_add_u32 v5, s6, 1, v9
	v_mov_b32_e32 v6, v3
	s_and_b64 vcc, exec, s[0:1]
	v_mov_b32_e32 v2, 0
	s_cbranch_vccnz .LBB0_8
; %bb.1:
	s_load_dwordx2 s[0:1], s[4:5], 0x10
	s_add_u32 s6, s2, 8
	s_addc_u32 s7, s3, 0
	v_mov_b32_e32 v1, 0
	v_mov_b32_e32 v2, 0
	s_waitcnt lgkmcnt(0)
	s_add_u32 s14, s0, 8
	s_addc_u32 s15, s1, 0
	s_mov_b64 s[16:17], 1
.LBB0_2:                                ; =>This Inner Loop Header: Depth=1
	s_load_dwordx2 s[18:19], s[14:15], 0x0
                                        ; implicit-def: $vgpr7_vgpr8
	s_waitcnt lgkmcnt(0)
	v_or_b32_e32 v4, s19, v6
	v_cmp_ne_u64_e32 vcc, 0, v[3:4]
	s_and_saveexec_b64 s[0:1], vcc
	s_xor_b64 s[20:21], exec, s[0:1]
	s_cbranch_execz .LBB0_4
; %bb.3:                                ;   in Loop: Header=BB0_2 Depth=1
	v_cvt_f32_u32_e32 v4, s18
	v_cvt_f32_u32_e32 v7, s19
	s_sub_u32 s0, 0, s18
	s_subb_u32 s1, 0, s19
	v_mac_f32_e32 v4, 0x4f800000, v7
	v_rcp_f32_e32 v4, v4
	v_mul_f32_e32 v4, 0x5f7ffffc, v4
	v_mul_f32_e32 v7, 0x2f800000, v4
	v_trunc_f32_e32 v7, v7
	v_mac_f32_e32 v4, 0xcf800000, v7
	v_cvt_u32_f32_e32 v7, v7
	v_cvt_u32_f32_e32 v4, v4
	v_mul_lo_u32 v8, s0, v7
	v_mul_hi_u32 v10, s0, v4
	v_mul_lo_u32 v12, s1, v4
	v_mul_lo_u32 v11, s0, v4
	v_add_u32_e32 v8, v10, v8
	v_add_u32_e32 v8, v8, v12
	v_mul_hi_u32 v10, v4, v11
	v_mul_lo_u32 v12, v4, v8
	v_mul_hi_u32 v14, v4, v8
	v_mul_hi_u32 v13, v7, v11
	v_mul_lo_u32 v11, v7, v11
	v_mul_hi_u32 v15, v7, v8
	v_add_co_u32_e32 v10, vcc, v10, v12
	v_addc_co_u32_e32 v12, vcc, 0, v14, vcc
	v_mul_lo_u32 v8, v7, v8
	v_add_co_u32_e32 v10, vcc, v10, v11
	v_addc_co_u32_e32 v10, vcc, v12, v13, vcc
	v_addc_co_u32_e32 v11, vcc, 0, v15, vcc
	v_add_co_u32_e32 v8, vcc, v10, v8
	v_addc_co_u32_e32 v10, vcc, 0, v11, vcc
	v_add_co_u32_e32 v4, vcc, v4, v8
	v_addc_co_u32_e32 v7, vcc, v7, v10, vcc
	v_mul_lo_u32 v8, s0, v7
	v_mul_hi_u32 v10, s0, v4
	v_mul_lo_u32 v11, s1, v4
	v_mul_lo_u32 v12, s0, v4
	v_add_u32_e32 v8, v10, v8
	v_add_u32_e32 v8, v8, v11
	v_mul_lo_u32 v13, v4, v8
	v_mul_hi_u32 v14, v4, v12
	v_mul_hi_u32 v15, v4, v8
	;; [unrolled: 1-line block ×3, first 2 shown]
	v_mul_lo_u32 v12, v7, v12
	v_mul_hi_u32 v10, v7, v8
	v_add_co_u32_e32 v13, vcc, v14, v13
	v_addc_co_u32_e32 v14, vcc, 0, v15, vcc
	v_mul_lo_u32 v8, v7, v8
	v_add_co_u32_e32 v12, vcc, v13, v12
	v_addc_co_u32_e32 v11, vcc, v14, v11, vcc
	v_addc_co_u32_e32 v10, vcc, 0, v10, vcc
	v_add_co_u32_e32 v8, vcc, v11, v8
	v_addc_co_u32_e32 v10, vcc, 0, v10, vcc
	v_add_co_u32_e32 v4, vcc, v4, v8
	v_addc_co_u32_e32 v10, vcc, v7, v10, vcc
	v_mad_u64_u32 v[7:8], s[0:1], v5, v10, 0
	v_mul_hi_u32 v11, v5, v4
	v_add_co_u32_e32 v12, vcc, v11, v7
	v_addc_co_u32_e32 v13, vcc, 0, v8, vcc
	v_mad_u64_u32 v[7:8], s[0:1], v6, v4, 0
	v_mad_u64_u32 v[10:11], s[0:1], v6, v10, 0
	v_add_co_u32_e32 v4, vcc, v12, v7
	v_addc_co_u32_e32 v4, vcc, v13, v8, vcc
	v_addc_co_u32_e32 v7, vcc, 0, v11, vcc
	v_add_co_u32_e32 v4, vcc, v4, v10
	v_addc_co_u32_e32 v10, vcc, 0, v7, vcc
	v_mul_lo_u32 v11, s19, v4
	v_mul_lo_u32 v12, s18, v10
	v_mad_u64_u32 v[7:8], s[0:1], s18, v4, 0
	v_add3_u32 v8, v8, v12, v11
	v_sub_u32_e32 v11, v6, v8
	v_mov_b32_e32 v12, s19
	v_sub_co_u32_e32 v7, vcc, v5, v7
	v_subb_co_u32_e64 v11, s[0:1], v11, v12, vcc
	v_subrev_co_u32_e64 v12, s[0:1], s18, v7
	v_subbrev_co_u32_e64 v11, s[0:1], 0, v11, s[0:1]
	v_cmp_le_u32_e64 s[0:1], s19, v11
	v_cndmask_b32_e64 v13, 0, -1, s[0:1]
	v_cmp_le_u32_e64 s[0:1], s18, v12
	v_cndmask_b32_e64 v12, 0, -1, s[0:1]
	v_cmp_eq_u32_e64 s[0:1], s19, v11
	v_cndmask_b32_e64 v11, v13, v12, s[0:1]
	v_add_co_u32_e64 v12, s[0:1], 2, v4
	v_addc_co_u32_e64 v13, s[0:1], 0, v10, s[0:1]
	v_add_co_u32_e64 v14, s[0:1], 1, v4
	v_addc_co_u32_e64 v15, s[0:1], 0, v10, s[0:1]
	v_subb_co_u32_e32 v8, vcc, v6, v8, vcc
	v_cmp_ne_u32_e64 s[0:1], 0, v11
	v_cmp_le_u32_e32 vcc, s19, v8
	v_cndmask_b32_e64 v11, v15, v13, s[0:1]
	v_cndmask_b32_e64 v13, 0, -1, vcc
	v_cmp_le_u32_e32 vcc, s18, v7
	v_cndmask_b32_e64 v7, 0, -1, vcc
	v_cmp_eq_u32_e32 vcc, s19, v8
	v_cndmask_b32_e32 v7, v13, v7, vcc
	v_cmp_ne_u32_e32 vcc, 0, v7
	v_cndmask_b32_e64 v7, v14, v12, s[0:1]
	v_cndmask_b32_e32 v8, v10, v11, vcc
	v_cndmask_b32_e32 v7, v4, v7, vcc
.LBB0_4:                                ;   in Loop: Header=BB0_2 Depth=1
	s_andn2_saveexec_b64 s[0:1], s[20:21]
	s_cbranch_execz .LBB0_6
; %bb.5:                                ;   in Loop: Header=BB0_2 Depth=1
	v_cvt_f32_u32_e32 v4, s18
	s_sub_i32 s20, 0, s18
	v_rcp_iflag_f32_e32 v4, v4
	v_mul_f32_e32 v4, 0x4f7ffffe, v4
	v_cvt_u32_f32_e32 v4, v4
	v_mul_lo_u32 v7, s20, v4
	v_mul_hi_u32 v7, v4, v7
	v_add_u32_e32 v4, v4, v7
	v_mul_hi_u32 v4, v5, v4
	v_mul_lo_u32 v7, v4, s18
	v_add_u32_e32 v8, 1, v4
	v_sub_u32_e32 v7, v5, v7
	v_subrev_u32_e32 v10, s18, v7
	v_cmp_le_u32_e32 vcc, s18, v7
	v_cndmask_b32_e32 v7, v7, v10, vcc
	v_cndmask_b32_e32 v4, v4, v8, vcc
	v_add_u32_e32 v8, 1, v4
	v_cmp_le_u32_e32 vcc, s18, v7
	v_cndmask_b32_e32 v7, v4, v8, vcc
	v_mov_b32_e32 v8, v3
.LBB0_6:                                ;   in Loop: Header=BB0_2 Depth=1
	s_or_b64 exec, exec, s[0:1]
	v_mul_lo_u32 v4, v8, s18
	v_mul_lo_u32 v12, v7, s19
	v_mad_u64_u32 v[10:11], s[0:1], v7, s18, 0
	s_load_dwordx2 s[0:1], s[6:7], 0x0
	s_add_u32 s16, s16, 1
	v_add3_u32 v4, v11, v12, v4
	v_sub_co_u32_e32 v5, vcc, v5, v10
	v_subb_co_u32_e32 v4, vcc, v6, v4, vcc
	s_waitcnt lgkmcnt(0)
	v_mul_lo_u32 v4, s0, v4
	v_mul_lo_u32 v6, s1, v5
	v_mad_u64_u32 v[1:2], s[0:1], s0, v5, v[1:2]
	s_addc_u32 s17, s17, 0
	s_add_u32 s6, s6, 8
	v_add3_u32 v2, v6, v2, v4
	v_mov_b32_e32 v4, s10
	v_mov_b32_e32 v5, s11
	s_addc_u32 s7, s7, 0
	v_cmp_ge_u64_e32 vcc, s[16:17], v[4:5]
	s_add_u32 s14, s14, 8
	s_addc_u32 s15, s15, 0
	s_cbranch_vccnz .LBB0_9
; %bb.7:                                ;   in Loop: Header=BB0_2 Depth=1
	v_mov_b32_e32 v5, v7
	v_mov_b32_e32 v6, v8
	s_branch .LBB0_2
.LBB0_8:
	v_mov_b32_e32 v8, v6
	v_mov_b32_e32 v7, v5
.LBB0_9:
	s_lshl_b64 s[0:1], s[10:11], 3
	s_add_u32 s0, s2, s0
	s_addc_u32 s1, s3, s1
	s_load_dwordx2 s[2:3], s[0:1], 0x0
	s_load_dwordx2 s[6:7], s[4:5], 0x20
	v_and_b32_e32 v5, 1, v9
	v_cmp_eq_u32_e32 vcc, 1, v5
	s_waitcnt lgkmcnt(0)
	v_mul_lo_u32 v3, s2, v8
	v_mul_lo_u32 v4, s3, v7
	v_mad_u64_u32 v[1:2], s[0:1], s2, v7, v[1:2]
	s_mov_b32 s0, 0x28f5c29
	v_cmp_le_u64_e64 s[2:3], s[6:7], v[7:8]
	v_add3_u32 v2, v4, v2, v3
	v_mul_hi_u32 v4, v0, s0
	v_cmp_gt_u64_e64 s[0:1], s[6:7], v[7:8]
	v_mov_b32_e32 v3, 0x641
	v_mul_u32_u24_e32 v4, 0x64, v4
	v_sub_u32_e32 v0, v0, v4
                                        ; implicit-def: $vgpr4
	s_and_saveexec_b64 s[4:5], s[2:3]
	s_xor_b64 s[2:3], exec, s[4:5]
; %bb.10:
	v_add_u32_e32 v4, 0x64, v0
; %bb.11:
	s_or_saveexec_b64 s[2:3], s[2:3]
	v_cndmask_b32_e32 v5, 0, v3, vcc
	v_lshlrev_b64 v[2:3], 2, v[1:2]
	v_lshlrev_b32_e32 v28, 2, v5
	v_lshlrev_b32_e32 v26, 2, v0
	s_xor_b64 exec, exec, s[2:3]
	s_cbranch_execz .LBB0_13
; %bb.12:
	v_mov_b32_e32 v1, 0
	v_mov_b32_e32 v4, s13
	v_add_co_u32_e32 v6, vcc, s12, v2
	v_addc_co_u32_e32 v7, vcc, v4, v3, vcc
	v_lshlrev_b64 v[4:5], 2, v[0:1]
	v_add_co_u32_e32 v4, vcc, v6, v4
	v_addc_co_u32_e32 v5, vcc, v7, v5, vcc
	v_add_co_u32_e32 v6, vcc, 0x1000, v4
	global_load_dword v1, v[4:5], off
	global_load_dword v8, v[4:5], off offset:1200
	global_load_dword v9, v[4:5], off offset:1600
	;; [unrolled: 1-line block ×7, first 2 shown]
	v_addc_co_u32_e32 v7, vcc, 0, v5, vcc
	global_load_dword v15, v[4:5], off offset:3200
	global_load_dword v16, v[4:5], off offset:3600
	;; [unrolled: 1-line block ×8, first 2 shown]
	v_add3_u32 v5, 0, v28, v26
	v_add_u32_e32 v4, 0x64, v0
	v_add_u32_e32 v6, 0x200, v5
	;; [unrolled: 1-line block ×8, first 2 shown]
	s_waitcnt vmcnt(9)
	ds_write2_b32 v6, v13, v8 offset0:72 offset1:172
	ds_write2_b32 v7, v9, v10 offset0:144 offset1:244
	;; [unrolled: 1-line block ×3, first 2 shown]
	s_waitcnt vmcnt(8)
	ds_write2_b32 v5, v1, v14 offset1:100
	s_waitcnt vmcnt(6)
	ds_write2_b32 v24, v15, v16 offset0:32 offset1:132
	s_waitcnt vmcnt(4)
	ds_write2_b32 v25, v17, v18 offset0:104 offset1:204
	;; [unrolled: 2-line block ×4, first 2 shown]
.LBB0_13:
	s_or_b64 exec, exec, s[2:3]
	v_add3_u32 v1, 0, v26, v28
	v_add_u32_e32 v33, 0x400, v1
	v_add_u32_e32 v29, 0xc00, v1
	v_add_u32_e32 v35, 0x1200, v1
	s_waitcnt lgkmcnt(0)
	s_barrier
	ds_read2_b32 v[9:10], v33 offset0:4 offset1:64
	v_add_u32_e32 v34, 0x800, v1
	ds_read2_b32 v[7:8], v29 offset0:132 offset1:192
	ds_read2_b32 v[11:12], v35 offset0:68 offset1:128
	;; [unrolled: 1-line block ×3, first 2 shown]
	v_add_u32_e32 v37, 0x1400, v1
	s_mov_b32 s6, 0xbb9c
	s_mov_b32 s5, 0xb8b4
	s_waitcnt lgkmcnt(1)
	v_sub_f16_e32 v5, v12, v8
	s_waitcnt lgkmcnt(0)
	v_sub_f16_e32 v6, v10, v14
	v_add_f16_e32 v5, v6, v5
	v_add_u32_e32 v6, 0xa00, v1
	ds_read2_b32 v[15:16], v6 offset0:100 offset1:160
	v_add_u32_e32 v6, 0x1000, v1
	ds_read2_b32 v[17:18], v6 offset0:36 offset1:96
	ds_read2_b32 v[19:20], v37 offset0:100 offset1:160
	;; [unrolled: 1-line block ×3, first 2 shown]
	v_sub_f16_sdwa v6, v10, v14 dst_sel:DWORD dst_unused:UNUSED_PAD src0_sel:WORD_1 src1_sel:WORD_1
	v_sub_f16_sdwa v23, v12, v8 dst_sel:DWORD dst_unused:UNUSED_PAD src0_sel:WORD_1 src1_sel:WORD_1
	v_add_f16_e32 v6, v6, v23
	s_waitcnt lgkmcnt(1)
	v_sub_f16_e32 v23, v20, v18
	s_waitcnt lgkmcnt(0)
	v_sub_f16_e32 v24, v22, v16
	v_add_f16_e32 v30, v24, v23
	v_sub_f16_sdwa v23, v22, v16 dst_sel:DWORD dst_unused:UNUSED_PAD src0_sel:WORD_1 src1_sel:WORD_1
	v_sub_f16_sdwa v24, v20, v18 dst_sel:DWORD dst_unused:UNUSED_PAD src0_sel:WORD_1 src1_sel:WORD_1
	v_add_f16_e32 v31, v23, v24
	ds_read2_b32 v[23:24], v1 offset0:100 offset1:160
	v_add_f16_e32 v25, v16, v18
	v_sub_f16_sdwa v38, v22, v20 dst_sel:DWORD dst_unused:UNUSED_PAD src0_sel:WORD_1 src1_sel:WORD_1
	v_sub_f16_sdwa v39, v16, v18 dst_sel:DWORD dst_unused:UNUSED_PAD src0_sel:WORD_1 src1_sel:WORD_1
	s_movk_i32 s3, 0x34f2
	s_waitcnt lgkmcnt(0)
	v_fma_f16 v32, v25, -0.5, v24
	v_fma_f16 v25, v38, s6, v32
	v_fma_f16 v25, v39, s5, v25
	;; [unrolled: 1-line block ×3, first 2 shown]
	v_add_f16_sdwa v25, v16, v18 dst_sel:DWORD dst_unused:UNUSED_PAD src0_sel:WORD_1 src1_sel:WORD_1
	v_lshrrev_b32_e32 v40, 16, v24
	s_movk_i32 s4, 0x3b9c
	v_fma_f16 v41, v25, -0.5, v40
	v_sub_f16_e32 v42, v22, v20
	s_movk_i32 s2, 0x38b4
	v_fma_f16 v25, v42, s4, v41
	v_sub_f16_e32 v43, v16, v18
	v_fma_f16 v25, v43, s2, v25
	v_fma_f16 v44, v31, s3, v25
	s_movk_i32 s7, 0x3a79
	v_mul_f16_e32 v25, 0xb8b4, v44
	v_add_u32_e32 v27, 0, v28
	v_fma_f16 v45, v36, s7, v25
	v_add_u32_e32 v25, v27, v26
	ds_read_b32 v46, v25
	v_mul_f16_e32 v36, 0x38b4, v36
	v_fma_f16 v44, v44, s7, v36
	ds_read_b32 v36, v1 offset:6160
	v_add_f16_e32 v47, v14, v8
	v_add_f16_sdwa v51, v14, v8 dst_sel:DWORD dst_unused:UNUSED_PAD src0_sel:WORD_1 src1_sel:WORD_1
	s_waitcnt lgkmcnt(1)
	v_lshrrev_b32_e32 v52, 16, v46
	v_fma_f16 v47, v47, -0.5, v46
	v_sub_f16_sdwa v48, v10, v12 dst_sel:DWORD dst_unused:UNUSED_PAD src0_sel:WORD_1 src1_sel:WORD_1
	v_fma_f16 v51, v51, -0.5, v52
	v_sub_f16_e32 v53, v10, v12
	v_fma_f16 v49, v48, s6, v47
	v_sub_f16_sdwa v50, v14, v8 dst_sel:DWORD dst_unused:UNUSED_PAD src0_sel:WORD_1 src1_sel:WORD_1
	v_fma_f16 v54, v53, s4, v51
	v_sub_f16_e32 v55, v14, v8
	v_fma_f16 v49, v50, s5, v49
	v_fma_f16 v54, v55, s2, v54
	v_pk_add_f16 v58, v46, v10
	v_pk_add_f16 v59, v24, v22
	v_fma_f16 v49, v5, s3, v49
	v_fma_f16 v54, v6, s3, v54
	v_pk_add_f16 v58, v58, v14
	v_pk_add_f16 v59, v59, v16
	v_add_f16_e32 v56, v49, v45
	v_add_f16_e32 v57, v54, v44
	v_pk_add_f16 v58, v58, v8
	v_pk_add_f16 v59, v59, v18
	v_pack_b32_f16 v56, v56, v57
	v_mul_u32_u24_e32 v57, 10, v0
	v_pk_add_f16 v58, v58, v12
	v_pk_add_f16 v59, v59, v20
	v_lshl_add_u32 v57, v57, 2, v27
	v_pk_add_f16 v60, v58, v59
	s_waitcnt lgkmcnt(0)
	s_barrier
	ds_write2_b32 v57, v60, v56 offset1:1
	v_add_f16_e32 v56, v10, v12
	v_fma_f16 v46, v56, -0.5, v46
	v_sub_f16_e32 v56, v8, v12
	v_sub_f16_e32 v60, v14, v10
	v_add_f16_e32 v56, v60, v56
	v_fma_f16 v60, v50, s4, v46
	v_fma_f16 v46, v50, s6, v46
	;; [unrolled: 1-line block ×6, first 2 shown]
	v_add_f16_sdwa v56, v10, v12 dst_sel:DWORD dst_unused:UNUSED_PAD src0_sel:WORD_1 src1_sel:WORD_1
	v_fma_f16 v52, v56, -0.5, v52
	v_sub_f16_sdwa v10, v14, v10 dst_sel:DWORD dst_unused:UNUSED_PAD src0_sel:WORD_1 src1_sel:WORD_1
	v_sub_f16_sdwa v8, v8, v12 dst_sel:DWORD dst_unused:UNUSED_PAD src0_sel:WORD_1 src1_sel:WORD_1
	v_add_f16_e32 v8, v10, v8
	v_fma_f16 v10, v55, s6, v52
	v_fma_f16 v12, v55, s4, v52
	;; [unrolled: 1-line block ×6, first 2 shown]
	v_sub_f16_e32 v12, v18, v20
	v_sub_f16_e32 v14, v16, v22
	v_add_f16_e32 v12, v14, v12
	v_add_f16_e32 v14, v22, v20
	v_fma_f16 v14, v14, -0.5, v24
	v_fma_f16 v24, v39, s4, v14
	v_fma_f16 v14, v39, s6, v14
	;; [unrolled: 1-line block ×6, first 2 shown]
	v_add_f16_sdwa v14, v22, v20 dst_sel:DWORD dst_unused:UNUSED_PAD src0_sel:WORD_1 src1_sel:WORD_1
	v_fma_f16 v14, v14, -0.5, v40
	v_sub_f16_sdwa v16, v16, v22 dst_sel:DWORD dst_unused:UNUSED_PAD src0_sel:WORD_1 src1_sel:WORD_1
	v_sub_f16_sdwa v18, v18, v20 dst_sel:DWORD dst_unused:UNUSED_PAD src0_sel:WORD_1 src1_sel:WORD_1
	v_add_f16_e32 v16, v16, v18
	v_fma_f16 v18, v43, s6, v14
	v_fma_f16 v14, v43, s4, v14
	;; [unrolled: 1-line block ×6, first 2 shown]
	s_mov_b32 s10, 0xb4f2
	v_mul_f16_e32 v20, 0xbb9c, v14
	v_mul_f16_e32 v14, 0xb4f2, v14
	;; [unrolled: 1-line block ×4, first 2 shown]
	v_fma_f16 v20, v12, s10, v20
	v_fma_f16 v12, v12, s4, v14
	v_fma_f16 v16, v24, s3, v16
	v_fma_f16 v18, v24, s4, v18
	v_add_f16_e32 v14, v46, v20
	v_add_f16_e32 v22, v8, v12
	v_pack_b32_f16 v14, v14, v22
	v_add_f16_e32 v22, v60, v16
	v_add_f16_e32 v24, v10, v18
	v_pack_b32_f16 v22, v22, v24
	ds_write2_b32 v57, v22, v14 offset0:2 offset1:3
	v_fma_f16 v14, v48, s4, v47
	v_fma_f16 v14, v50, s2, v14
	;; [unrolled: 1-line block ×12, first 2 shown]
	s_mov_b32 s11, 0xba79
	v_mul_f16_e32 v24, 0xb8b4, v22
	v_mul_f16_e32 v22, 0xba79, v22
	v_fma_f16 v24, v14, s11, v24
	v_fma_f16 v14, v14, s2, v22
	v_add_f16_e32 v30, v5, v24
	v_add_f16_e32 v31, v6, v14
	v_pk_add_f16 v22, v58, v59 neg_lo:[0,1] neg_hi:[0,1]
	v_pack_b32_f16 v30, v30, v31
	ds_write2_b32 v57, v30, v22 offset0:4 offset1:5
	v_sub_f16_e32 v22, v49, v45
	v_sub_f16_e32 v16, v60, v16
	v_sub_f16_e32 v30, v54, v44
	v_sub_f16_e32 v10, v10, v18
	v_pack_b32_f16 v10, v16, v10
	v_pack_b32_f16 v16, v22, v30
	ds_write2_b32 v57, v16, v10 offset0:6 offset1:7
	v_sub_f16_e32 v10, v46, v20
	v_sub_f16_e32 v5, v5, v24
	;; [unrolled: 1-line block ×4, first 2 shown]
	v_pack_b32_f16 v5, v5, v6
	v_pack_b32_f16 v6, v10, v8
	ds_write2_b32 v57, v6, v5 offset0:8 offset1:9
	v_sub_f16_e32 v5, v19, v17
	v_sub_f16_e32 v6, v21, v15
	v_add_f16_e32 v5, v6, v5
	v_add_f16_e32 v6, v15, v17
	v_fma_f16 v6, v6, -0.5, v23
	v_sub_f16_sdwa v8, v21, v19 dst_sel:DWORD dst_unused:UNUSED_PAD src0_sel:WORD_1 src1_sel:WORD_1
	v_fma_f16 v10, v8, s6, v6
	v_sub_f16_sdwa v14, v15, v17 dst_sel:DWORD dst_unused:UNUSED_PAD src0_sel:WORD_1 src1_sel:WORD_1
	v_fma_f16 v6, v8, s4, v6
	v_fma_f16 v10, v14, s5, v10
	;; [unrolled: 1-line block ×5, first 2 shown]
	v_sub_f16_e32 v5, v17, v19
	v_sub_f16_e32 v6, v15, v21
	v_add_f16_e32 v5, v6, v5
	v_add_f16_e32 v6, v21, v19
	v_fma_f16 v6, v6, -0.5, v23
	v_fma_f16 v16, v14, s4, v6
	v_fma_f16 v6, v14, s6, v6
	v_fma_f16 v14, v8, s5, v16
	v_fma_f16 v6, v8, s2, v6
	v_fma_f16 v14, v5, s3, v14
	v_fma_f16 v16, v5, s3, v6
	v_sub_f16_sdwa v5, v21, v15 dst_sel:DWORD dst_unused:UNUSED_PAD src0_sel:WORD_1 src1_sel:WORD_1
	v_sub_f16_sdwa v6, v19, v17 dst_sel:DWORD dst_unused:UNUSED_PAD src0_sel:WORD_1 src1_sel:WORD_1
	v_add_f16_e32 v5, v5, v6
	v_add_f16_sdwa v6, v15, v17 dst_sel:DWORD dst_unused:UNUSED_PAD src0_sel:WORD_1 src1_sel:WORD_1
	v_lshrrev_b32_e32 v8, 16, v23
	v_fma_f16 v6, v6, -0.5, v8
	v_sub_f16_e32 v22, v21, v19
	v_fma_f16 v18, v22, s4, v6
	v_sub_f16_e32 v24, v15, v17
	v_fma_f16 v6, v22, s6, v6
	v_fma_f16 v18, v24, s2, v18
	;; [unrolled: 1-line block ×5, first 2 shown]
	v_add_f16_sdwa v5, v21, v19 dst_sel:DWORD dst_unused:UNUSED_PAD src0_sel:WORD_1 src1_sel:WORD_1
	v_fma_f16 v5, v5, -0.5, v8
	v_sub_f16_sdwa v6, v15, v21 dst_sel:DWORD dst_unused:UNUSED_PAD src0_sel:WORD_1 src1_sel:WORD_1
	v_sub_f16_sdwa v8, v17, v19 dst_sel:DWORD dst_unused:UNUSED_PAD src0_sel:WORD_1 src1_sel:WORD_1
	v_add_f16_e32 v6, v6, v8
	v_fma_f16 v8, v24, s6, v5
	v_fma_f16 v5, v24, s4, v5
	;; [unrolled: 1-line block ×6, first 2 shown]
	v_sub_f16_e32 v5, v36, v11
	v_sub_f16_e32 v6, v13, v7
	v_add_f16_e32 v5, v6, v5
	v_add_f16_e32 v6, v7, v11
	v_fma_f16 v6, v6, -0.5, v9
	v_sub_f16_sdwa v8, v13, v36 dst_sel:DWORD dst_unused:UNUSED_PAD src0_sel:WORD_1 src1_sel:WORD_1
	v_fma_f16 v22, v8, s6, v6
	v_sub_f16_sdwa v24, v7, v11 dst_sel:DWORD dst_unused:UNUSED_PAD src0_sel:WORD_1 src1_sel:WORD_1
	v_fma_f16 v6, v8, s4, v6
	v_fma_f16 v22, v24, s5, v22
	v_fma_f16 v6, v24, s2, v6
	v_fma_f16 v22, v5, s3, v22
	v_fma_f16 v5, v5, s3, v6
	v_sub_f16_e32 v6, v11, v36
	v_sub_f16_e32 v30, v7, v13
	v_add_f16_e32 v6, v30, v6
	v_add_f16_e32 v30, v13, v36
	v_fma_f16 v30, v30, -0.5, v9
	v_fma_f16 v31, v24, s4, v30
	v_fma_f16 v24, v24, s6, v30
	;; [unrolled: 1-line block ×6, first 2 shown]
	v_sub_f16_sdwa v8, v13, v7 dst_sel:DWORD dst_unused:UNUSED_PAD src0_sel:WORD_1 src1_sel:WORD_1
	v_sub_f16_sdwa v30, v36, v11 dst_sel:DWORD dst_unused:UNUSED_PAD src0_sel:WORD_1 src1_sel:WORD_1
	v_add_f16_e32 v8, v8, v30
	v_add_f16_sdwa v30, v7, v11 dst_sel:DWORD dst_unused:UNUSED_PAD src0_sel:WORD_1 src1_sel:WORD_1
	v_lshrrev_b32_e32 v31, 16, v9
	v_fma_f16 v30, v30, -0.5, v31
	v_sub_f16_e32 v32, v13, v36
	v_fma_f16 v40, v32, s4, v30
	v_sub_f16_e32 v41, v7, v11
	v_fma_f16 v30, v32, s6, v30
	v_fma_f16 v40, v41, s2, v40
	;; [unrolled: 1-line block ×5, first 2 shown]
	v_add_f16_sdwa v30, v13, v36 dst_sel:DWORD dst_unused:UNUSED_PAD src0_sel:WORD_1 src1_sel:WORD_1
	v_fma_f16 v30, v30, -0.5, v31
	v_sub_f16_sdwa v31, v7, v13 dst_sel:DWORD dst_unused:UNUSED_PAD src0_sel:WORD_1 src1_sel:WORD_1
	v_sub_f16_sdwa v40, v11, v36 dst_sel:DWORD dst_unused:UNUSED_PAD src0_sel:WORD_1 src1_sel:WORD_1
	v_add_f16_e32 v31, v31, v40
	v_fma_f16 v40, v41, s6, v30
	v_fma_f16 v30, v41, s4, v30
	;; [unrolled: 1-line block ×6, first 2 shown]
	v_mul_f16_e32 v31, 0xb8b4, v42
	v_fma_f16 v40, v22, s7, v31
	v_mul_f16_e32 v22, 0x38b4, v22
	v_fma_f16 v42, v42, s7, v22
	;; [unrolled: 2-line block ×8, first 2 shown]
	v_sub_f16_e32 v5, v14, v41
	v_sub_f16_e32 v6, v16, v43
	v_cmp_gt_u32_e32 vcc, 60, v0
	v_sub_f16_e32 v22, v12, v45
	v_sub_f16_e32 v31, v18, v42
	;; [unrolled: 1-line block ×6, first 2 shown]
	s_and_saveexec_b64 s[2:3], vcc
	s_cbranch_execz .LBB0_15
; %bb.14:
	v_pk_add_f16 v21, v23, v21
	v_pk_add_f16 v9, v9, v13
	;; [unrolled: 1-line block ×4, first 2 shown]
	v_add_f16_e32 v23, v38, v44
	v_mul_i32_i24_e32 v38, 10, v4
	v_pk_add_f16 v15, v15, v17
	v_pk_add_f16 v7, v7, v11
	v_add_f16_e32 v18, v18, v42
	v_add_f16_e32 v10, v10, v40
	v_lshlrev_b32_e32 v38, 2, v38
	v_pk_add_f16 v15, v15, v19
	v_pk_add_f16 v7, v7, v36
	v_add_f16_e32 v13, v20, v47
	v_add_f16_e32 v20, v39, v46
	;; [unrolled: 1-line block ×4, first 2 shown]
	v_add3_u32 v38, 0, v38, v28
	v_pk_add_f16 v9, v15, v7
	v_pack_b32_f16 v10, v10, v18
	v_add_f16_e32 v12, v12, v45
	ds_write2_b32 v38, v9, v10 offset1:1
	v_pack_b32_f16 v9, v16, v20
	v_pack_b32_f16 v10, v14, v23
	ds_write2_b32 v38, v10, v9 offset0:2 offset1:3
	v_pk_add_f16 v7, v15, v7 neg_lo:[0,1] neg_hi:[0,1]
	v_pack_b32_f16 v9, v12, v13
	s_mov_b32 s4, 0x5040100
	ds_write2_b32 v38, v9, v7 offset0:4 offset1:5
	v_perm_b32 v7, v24, v5, s4
	v_perm_b32 v9, v31, v8, s4
	ds_write2_b32 v38, v9, v7 offset0:6 offset1:7
	v_perm_b32 v7, v30, v22, s4
	v_perm_b32 v9, v32, v6, s4
	ds_write2_b32 v38, v9, v7 offset0:8 offset1:9
.LBB0_15:
	s_or_b64 exec, exec, s[2:3]
	v_lshlrev_b32_e32 v9, 2, v4
	s_movk_i32 s2, 0xcd
	v_add3_u32 v36, 0, v9, v28
	v_mul_lo_u16_sdwa v9, v0, s2 dst_sel:DWORD dst_unused:UNUSED_PAD src0_sel:BYTE_0 src1_sel:DWORD
	v_lshrrev_b16_e32 v53, 11, v9
	v_mul_lo_u16_e32 v9, 10, v53
	v_sub_u16_e32 v54, v0, v9
	v_mov_b32_e32 v9, 15
	v_mul_u32_u24_sdwa v9, v54, v9 dst_sel:DWORD dst_unused:UNUSED_PAD src0_sel:BYTE_0 src1_sel:DWORD
	v_add_u32_e32 v13, 0x200, v1
	v_lshlrev_b32_e32 v55, 2, v9
	s_waitcnt lgkmcnt(0)
	s_barrier
	ds_read_b32 v7, v25
	ds_read_b32 v20, v36
	ds_read2_b32 v[14:15], v13 offset0:72 offset1:172
	ds_read2_b32 v[16:17], v33 offset0:144 offset1:244
	global_load_dwordx4 v[9:12], v55, s[8:9]
	ds_read2_b32 v[18:19], v34 offset0:88 offset1:188
	ds_read2_b32 v[33:34], v29 offset0:32 offset1:132
	s_waitcnt lgkmcnt(4)
	v_lshrrev_b32_e32 v56, 16, v20
	s_waitcnt lgkmcnt(2)
	v_lshrrev_b32_e32 v23, 16, v16
	v_lshrrev_b32_e32 v44, 16, v17
	s_waitcnt lgkmcnt(1)
	v_lshrrev_b32_e32 v45, 16, v18
	;; [unrolled: 3-line block ×3, first 2 shown]
	v_add_u32_e32 v21, 0xe00, v1
	ds_read2_b32 v[38:39], v21 offset0:104 offset1:204
	v_lshrrev_b32_e32 v48, 16, v34
	ds_read2_b32 v[40:41], v35 offset0:48 offset1:148
	ds_read2_b32 v[42:43], v37 offset0:120 offset1:220
	s_mov_b32 s2, 0xb9a8
	s_waitcnt lgkmcnt(2)
	v_lshrrev_b32_e32 v49, 16, v38
	v_lshrrev_b32_e32 v50, 16, v39
	s_waitcnt lgkmcnt(1)
	v_lshrrev_b32_e32 v35, 16, v40
	v_lshrrev_b32_e32 v51, 16, v41
	;; [unrolled: 3-line block ×3, first 2 shown]
	s_movk_i32 s3, 0x39a8
	s_mov_b32 s4, 0xbb64
	s_movk_i32 s5, 0x361f
	s_mov_b32 s6, 0xb61f
	s_movk_i32 s7, 0x3b64
	s_waitcnt vmcnt(0)
	v_mul_f16_sdwa v57, v9, v56 dst_sel:DWORD dst_unused:UNUSED_PAD src0_sel:WORD_1 src1_sel:DWORD
	v_fma_f16 v57, v9, v20, v57
	v_mul_f16_sdwa v20, v9, v20 dst_sel:DWORD dst_unused:UNUSED_PAD src0_sel:WORD_1 src1_sel:DWORD
	v_fma_f16 v20, v9, v56, -v20
	v_lshrrev_b32_e32 v9, 16, v14
	v_mul_f16_sdwa v56, v10, v9 dst_sel:DWORD dst_unused:UNUSED_PAD src0_sel:WORD_1 src1_sel:DWORD
	v_fma_f16 v56, v10, v14, v56
	v_mul_f16_sdwa v14, v10, v14 dst_sel:DWORD dst_unused:UNUSED_PAD src0_sel:WORD_1 src1_sel:DWORD
	v_fma_f16 v14, v10, v9, -v14
	v_lshrrev_b32_e32 v9, 16, v15
	v_mul_f16_sdwa v10, v11, v9 dst_sel:DWORD dst_unused:UNUSED_PAD src0_sel:WORD_1 src1_sel:DWORD
	v_fma_f16 v58, v11, v15, v10
	v_mul_f16_sdwa v10, v11, v15 dst_sel:DWORD dst_unused:UNUSED_PAD src0_sel:WORD_1 src1_sel:DWORD
	v_fma_f16 v15, v11, v9, -v10
	v_mul_f16_sdwa v9, v23, v12 dst_sel:DWORD dst_unused:UNUSED_PAD src0_sel:DWORD src1_sel:WORD_1
	v_fma_f16 v59, v16, v12, v9
	v_mul_f16_sdwa v9, v16, v12 dst_sel:DWORD dst_unused:UNUSED_PAD src0_sel:DWORD src1_sel:WORD_1
	v_fma_f16 v16, v23, v12, -v9
	global_load_dwordx4 v[9:12], v55, s[8:9] offset:16
	s_waitcnt vmcnt(0)
	v_mul_f16_sdwa v23, v44, v9 dst_sel:DWORD dst_unused:UNUSED_PAD src0_sel:DWORD src1_sel:WORD_1
	v_fma_f16 v23, v17, v9, v23
	v_mul_f16_sdwa v17, v17, v9 dst_sel:DWORD dst_unused:UNUSED_PAD src0_sel:DWORD src1_sel:WORD_1
	v_fma_f16 v17, v44, v9, -v17
	v_mul_f16_sdwa v9, v45, v10 dst_sel:DWORD dst_unused:UNUSED_PAD src0_sel:DWORD src1_sel:WORD_1
	v_fma_f16 v44, v18, v10, v9
	v_mul_f16_sdwa v9, v18, v10 dst_sel:DWORD dst_unused:UNUSED_PAD src0_sel:DWORD src1_sel:WORD_1
	v_fma_f16 v18, v45, v10, -v9
	;; [unrolled: 4-line block ×4, first 2 shown]
	global_load_dwordx4 v[9:12], v55, s[8:9] offset:32
	s_waitcnt vmcnt(0)
	v_mul_f16_sdwa v47, v48, v9 dst_sel:DWORD dst_unused:UNUSED_PAD src0_sel:DWORD src1_sel:WORD_1
	v_fma_f16 v47, v34, v9, v47
	v_mul_f16_sdwa v34, v34, v9 dst_sel:DWORD dst_unused:UNUSED_PAD src0_sel:DWORD src1_sel:WORD_1
	v_fma_f16 v34, v48, v9, -v34
	v_mul_f16_sdwa v9, v49, v10 dst_sel:DWORD dst_unused:UNUSED_PAD src0_sel:DWORD src1_sel:WORD_1
	v_fma_f16 v48, v38, v10, v9
	v_mul_f16_sdwa v9, v38, v10 dst_sel:DWORD dst_unused:UNUSED_PAD src0_sel:DWORD src1_sel:WORD_1
	v_fma_f16 v38, v49, v10, -v9
	;; [unrolled: 4-line block ×4, first 2 shown]
	global_load_dwordx3 v[9:11], v55, s[8:9] offset:48
	v_sub_f16_e32 v12, v16, v12
	v_sub_f16_e32 v48, v56, v48
	;; [unrolled: 1-line block ×3, first 2 shown]
	v_fma_f16 v16, v16, 2.0, -v12
	v_fma_f16 v14, v14, 2.0, -v38
	v_sub_f16_e32 v47, v57, v47
	v_sub_f16_e32 v49, v58, v49
	v_sub_f16_e32 v34, v20, v34
	v_sub_f16_e32 v39, v15, v39
	v_fma_f16 v15, v15, 2.0, -v39
	v_fma_f16 v20, v20, 2.0, -v34
	s_waitcnt vmcnt(0)
	s_barrier
	v_mul_f16_sdwa v35, v51, v9 dst_sel:DWORD dst_unused:UNUSED_PAD src0_sel:DWORD src1_sel:WORD_1
	v_mul_f16_sdwa v40, v41, v9 dst_sel:DWORD dst_unused:UNUSED_PAD src0_sel:DWORD src1_sel:WORD_1
	v_fma_f16 v35, v41, v9, v35
	v_fma_f16 v9, v51, v9, -v40
	v_mul_f16_sdwa v40, v37, v10 dst_sel:DWORD dst_unused:UNUSED_PAD src0_sel:DWORD src1_sel:WORD_1
	v_mul_f16_sdwa v41, v42, v10 dst_sel:DWORD dst_unused:UNUSED_PAD src0_sel:DWORD src1_sel:WORD_1
	v_fma_f16 v40, v42, v10, v40
	v_fma_f16 v10, v37, v10, -v41
	;; [unrolled: 4-line block ×3, first 2 shown]
	v_lshrrev_b32_e32 v41, 16, v7
	v_sub_f16_e32 v42, v7, v46
	v_sub_f16_e32 v33, v41, v33
	v_sub_f16_e32 v43, v59, v50
	v_sub_f16_e32 v40, v44, v40
	v_sub_f16_e32 v10, v18, v10
	v_fma_f16 v46, v59, 2.0, -v43
	v_fma_f16 v44, v44, 2.0, -v40
	;; [unrolled: 1-line block ×3, first 2 shown]
	v_add_f16_e32 v12, v42, v12
	v_sub_f16_e32 v43, v33, v43
	v_add_f16_e32 v10, v48, v10
	v_sub_f16_e32 v40, v38, v40
	v_fma_f16 v7, v7, 2.0, -v42
	v_fma_f16 v41, v41, 2.0, -v33
	;; [unrolled: 1-line block ×3, first 2 shown]
	v_sub_f16_e32 v35, v23, v35
	v_sub_f16_e32 v37, v45, v37
	v_fma_f16 v42, v42, 2.0, -v12
	v_fma_f16 v33, v33, 2.0, -v43
	;; [unrolled: 1-line block ×5, first 2 shown]
	v_sub_f16_e32 v9, v17, v9
	v_fma_f16 v23, v23, 2.0, -v35
	v_fma_f16 v52, v58, 2.0, -v49
	v_sub_f16_e32 v11, v19, v11
	v_fma_f16 v45, v45, 2.0, -v37
	v_fma_f16 v55, v48, s2, v42
	v_fma_f16 v56, v38, s2, v33
	v_fma_f16 v17, v17, 2.0, -v9
	v_fma_f16 v19, v19, 2.0, -v11
	v_sub_f16_e32 v46, v7, v46
	v_sub_f16_e32 v44, v50, v44
	;; [unrolled: 1-line block ×3, first 2 shown]
	v_add_f16_e32 v9, v47, v9
	v_sub_f16_e32 v45, v52, v45
	v_add_f16_e32 v11, v49, v11
	v_fma_f16 v38, v38, s3, v55
	v_fma_f16 v48, v48, s2, v56
	;; [unrolled: 1-line block ×4, first 2 shown]
	v_fma_f16 v7, v7, 2.0, -v46
	v_fma_f16 v50, v50, 2.0, -v44
	;; [unrolled: 1-line block ×3, first 2 shown]
	v_sub_f16_e32 v35, v34, v35
	v_fma_f16 v47, v47, 2.0, -v9
	v_fma_f16 v52, v52, 2.0, -v45
	v_sub_f16_e32 v37, v39, v37
	v_fma_f16 v49, v49, 2.0, -v11
	v_fma_f16 v40, v40, s3, v55
	v_fma_f16 v55, v10, s2, v56
	v_fma_f16 v34, v34, 2.0, -v35
	v_sub_f16_e32 v19, v15, v19
	v_fma_f16 v39, v39, 2.0, -v37
	v_sub_f16_e32 v50, v7, v50
	v_fma_f16 v10, v12, 2.0, -v40
	v_fma_f16 v12, v43, 2.0, -v55
	v_sub_f16_e32 v43, v51, v52
	v_fma_f16 v52, v49, s2, v47
	v_sub_f16_e32 v18, v14, v18
	v_fma_f16 v15, v15, 2.0, -v19
	v_fma_f16 v7, v7, 2.0, -v50
	;; [unrolled: 1-line block ×3, first 2 shown]
	v_fma_f16 v56, v39, s2, v34
	v_fma_f16 v39, v39, s3, v52
	v_add_f16_e32 v19, v23, v19
	v_fma_f16 v14, v14, 2.0, -v18
	v_sub_f16_e32 v17, v20, v17
	v_fma_f16 v42, v42, 2.0, -v38
	v_add_f16_e32 v18, v46, v18
	v_fma_f16 v49, v49, s2, v56
	v_fma_f16 v47, v47, 2.0, -v39
	v_fma_f16 v52, v23, 2.0, -v19
	v_fma_f16 v23, v11, s3, v9
	v_fma_f16 v56, v37, s3, v35
	v_sub_f16_e32 v51, v7, v51
	v_sub_f16_e32 v16, v41, v16
	v_fma_f16 v33, v33, 2.0, -v48
	v_fma_f16 v46, v46, 2.0, -v18
	v_fma_f16 v34, v34, 2.0, -v49
	v_sub_f16_e32 v45, v17, v45
	v_fma_f16 v57, v37, s3, v23
	v_fma_f16 v56, v11, s2, v56
	v_fma_f16 v58, v7, 2.0, -v51
	v_fma_f16 v7, v47, s4, v42
	v_fma_f16 v20, v20, 2.0, -v17
	v_sub_f16_e32 v44, v16, v44
	v_fma_f16 v17, v17, 2.0, -v45
	v_fma_f16 v11, v9, 2.0, -v57
	;; [unrolled: 1-line block ×3, first 2 shown]
	v_fma_f16 v23, v34, s4, v33
	v_fma_f16 v59, v34, s5, v7
	;; [unrolled: 1-line block ×3, first 2 shown]
	v_fma_f16 v41, v41, 2.0, -v16
	v_fma_f16 v16, v16, 2.0, -v44
	v_fma_f16 v47, v47, s6, v23
	v_fma_f16 v23, v17, s3, v7
	;; [unrolled: 1-line block ×4, first 2 shown]
	v_fma_f16 v60, v33, 2.0, -v47
	v_fma_f16 v33, v17, s2, v16
	v_fma_f16 v9, v9, s7, v7
	;; [unrolled: 1-line block ×4, first 2 shown]
	v_sub_f16_e32 v14, v41, v14
	v_fma_f16 v33, v52, s2, v33
	v_fma_f16 v52, v12, 2.0, -v34
	v_fma_f16 v12, v49, s5, v48
	v_fma_f16 v11, v49, s7, v7
	;; [unrolled: 1-line block ×3, first 2 shown]
	v_sub_f16_e32 v15, v20, v15
	v_sub_f16_e32 v37, v14, v43
	v_fma_f16 v35, v39, s4, v12
	v_fma_f16 v43, v38, 2.0, -v11
	v_fma_f16 v38, v45, s3, v44
	v_fma_f16 v12, v45, s3, v7
	v_mul_u32_u24_e32 v45, 0xa0, v53
	v_fma_f16 v17, v46, 2.0, -v23
	v_fma_f16 v46, v10, 2.0, -v9
	v_add_f16_e32 v10, v50, v15
	v_fma_f16 v39, v19, s2, v38
	v_fma_f16 v7, v57, s7, v40
	;; [unrolled: 1-line block ×3, first 2 shown]
	v_or_b32_sdwa v45, v45, v54 dst_sel:DWORD dst_unused:UNUSED_PAD src0_sel:DWORD src1_sel:BYTE_0
	v_fma_f16 v41, v41, 2.0, -v14
	v_fma_f16 v20, v20, 2.0, -v15
	;; [unrolled: 1-line block ×5, first 2 shown]
	v_fma_f16 v7, v56, s5, v7
	v_fma_f16 v38, v57, s6, v38
	v_lshlrev_b32_e32 v45, 2, v45
	v_fma_f16 v18, v18, 2.0, -v12
	v_fma_f16 v19, v44, 2.0, -v39
	;; [unrolled: 1-line block ×4, first 2 shown]
	v_add3_u32 v28, 0, v45, v28
	v_pack_b32_f16 v14, v15, v14
	v_pack_b32_f16 v15, v43, v48
	v_sub_f16_e32 v20, v41, v20
	ds_write2_b32 v28, v14, v15 offset0:40 offset1:50
	v_pack_b32_f16 v14, v18, v19
	v_pack_b32_f16 v15, v40, v44
	ds_write2_b32 v28, v14, v15 offset0:60 offset1:70
	v_pack_b32_f16 v14, v51, v20
	v_pack_b32_f16 v15, v59, v47
	ds_write2_b32 v28, v14, v15 offset0:80 offset1:90
	v_pack_b32_f16 v14, v23, v33
	v_pack_b32_f16 v15, v9, v34
	v_fma_f16 v41, v41, 2.0, -v20
	v_fma_f16 v42, v42, 2.0, -v59
	;; [unrolled: 1-line block ×3, first 2 shown]
	ds_write2_b32 v28, v14, v15 offset0:100 offset1:110
	v_pack_b32_f16 v14, v10, v37
	v_pack_b32_f16 v15, v11, v35
	;; [unrolled: 1-line block ×6, first 2 shown]
	ds_write2_b32 v28, v14, v15 offset0:120 offset1:130
	v_pack_b32_f16 v14, v12, v39
	v_pack_b32_f16 v15, v7, v38
	ds_write2_b32 v28, v41, v42 offset1:10
	ds_write2_b32 v28, v16, v17 offset0:20 offset1:30
	ds_write2_b32 v28, v14, v15 offset0:140 offset1:150
	s_waitcnt lgkmcnt(0)
	s_barrier
	ds_read_b32 v28, v25
	ds_read2_b32 v[19:20], v13 offset0:32 offset1:192
	v_add_u32_e32 v13, 0x700, v1
	ds_read2_b32 v[17:18], v13 offset0:32 offset1:192
	ds_read2_b32 v[15:16], v29 offset0:32 offset1:192
	v_add_u32_e32 v13, 0x1100, v1
	ds_read2_b32 v[13:14], v13 offset0:32 offset1:192
	ds_read_b32 v29, v1 offset:5760
	s_and_saveexec_b64 s[2:3], vcc
	s_cbranch_execz .LBB0_17
; %bb.16:
	v_add_u32_e32 v5, 0x400, v1
	ds_read_b32 v23, v36
	ds_read2_b32 v[9:10], v5 offset0:4 offset1:164
	v_add_u32_e32 v5, 0x800, v1
	ds_read2_b32 v[11:12], v5 offset0:68 offset1:228
	v_add_u32_e32 v5, 0x1200, v1
	ds_read_b32 v22, v1 offset:6160
	ds_read2_b32 v[7:8], v21 offset0:4 offset1:164
	ds_read2_b32 v[5:6], v5 offset0:68 offset1:228
	s_waitcnt lgkmcnt(5)
	v_lshrrev_b32_e32 v33, 16, v23
	s_waitcnt lgkmcnt(4)
	v_lshrrev_b32_e32 v34, 16, v9
	v_lshrrev_b32_e32 v37, 16, v10
	s_waitcnt lgkmcnt(3)
	v_lshrrev_b32_e32 v35, 16, v11
	;; [unrolled: 3-line block ×4, first 2 shown]
	v_lshrrev_b32_e32 v32, 16, v6
	v_lshrrev_b32_e32 v30, 16, v22
.LBB0_17:
	s_or_b64 exec, exec, s[2:3]
	v_mul_u32_u24_e32 v40, 9, v0
	v_lshlrev_b32_e32 v53, 2, v40
	global_load_dwordx4 v[40:43], v53, s[8:9] offset:600
	s_waitcnt lgkmcnt(4)
	v_lshrrev_b32_e32 v52, 16, v19
	v_lshrrev_b32_e32 v51, 16, v20
	s_waitcnt lgkmcnt(3)
	v_lshrrev_b32_e32 v50, 16, v17
	v_lshrrev_b32_e32 v49, 16, v18
	;; [unrolled: 3-line block ×4, first 2 shown]
	s_waitcnt lgkmcnt(0)
	v_lshrrev_b32_e32 v44, 16, v29
	s_mov_b32 s4, 0xbb9c
	s_movk_i32 s7, 0x3b9c
	s_mov_b32 s5, 0xb8b4
	s_movk_i32 s10, 0x38b4
	s_movk_i32 s6, 0x34f2
	v_lshrrev_b32_e32 v36, 16, v28
	s_movk_i32 s11, 0x3a79
	s_mov_b32 s14, 0xb4f2
	s_mov_b32 s15, 0xba79
	s_waitcnt vmcnt(0)
	v_mul_f16_sdwa v54, v40, v52 dst_sel:DWORD dst_unused:UNUSED_PAD src0_sel:WORD_1 src1_sel:DWORD
	v_fma_f16 v54, v40, v19, v54
	v_mul_f16_sdwa v19, v40, v19 dst_sel:DWORD dst_unused:UNUSED_PAD src0_sel:WORD_1 src1_sel:DWORD
	v_fma_f16 v40, v40, v52, -v19
	v_mul_f16_sdwa v19, v41, v51 dst_sel:DWORD dst_unused:UNUSED_PAD src0_sel:WORD_1 src1_sel:DWORD
	v_fma_f16 v52, v41, v20, v19
	v_mul_f16_sdwa v19, v41, v20 dst_sel:DWORD dst_unused:UNUSED_PAD src0_sel:WORD_1 src1_sel:DWORD
	v_fma_f16 v41, v41, v51, -v19
	;; [unrolled: 4-line block ×4, first 2 shown]
	global_load_dwordx4 v[17:20], v53, s[8:9] offset:616
	s_waitcnt vmcnt(0)
	v_mul_f16_sdwa v49, v17, v48 dst_sel:DWORD dst_unused:UNUSED_PAD src0_sel:WORD_1 src1_sel:DWORD
	v_fma_f16 v49, v17, v15, v49
	v_mul_f16_sdwa v15, v17, v15 dst_sel:DWORD dst_unused:UNUSED_PAD src0_sel:WORD_1 src1_sel:DWORD
	v_fma_f16 v15, v17, v48, -v15
	v_mul_f16_sdwa v17, v18, v47 dst_sel:DWORD dst_unused:UNUSED_PAD src0_sel:WORD_1 src1_sel:DWORD
	v_fma_f16 v17, v18, v16, v17
	v_mul_f16_sdwa v16, v18, v16 dst_sel:DWORD dst_unused:UNUSED_PAD src0_sel:WORD_1 src1_sel:DWORD
	v_fma_f16 v16, v18, v47, -v16
	v_mul_f16_sdwa v18, v19, v46 dst_sel:DWORD dst_unused:UNUSED_PAD src0_sel:WORD_1 src1_sel:DWORD
	v_fma_f16 v18, v19, v13, v18
	v_mul_f16_sdwa v13, v19, v13 dst_sel:DWORD dst_unused:UNUSED_PAD src0_sel:WORD_1 src1_sel:DWORD
	v_fma_f16 v13, v19, v46, -v13
	v_mul_f16_sdwa v19, v20, v45 dst_sel:DWORD dst_unused:UNUSED_PAD src0_sel:WORD_1 src1_sel:DWORD
	v_fma_f16 v19, v20, v14, v19
	v_mul_f16_sdwa v14, v20, v14 dst_sel:DWORD dst_unused:UNUSED_PAD src0_sel:WORD_1 src1_sel:DWORD
	v_fma_f16 v14, v20, v45, -v14
	global_load_dword v20, v53, s[8:9] offset:632
	v_sub_f16_e32 v46, v41, v14
	v_sub_f16_e32 v48, v43, v16
	;; [unrolled: 1-line block ×4, first 2 shown]
	v_add_f16_e32 v53, v53, v55
	v_sub_f16_e32 v55, v50, v52
	v_sub_f16_e32 v56, v17, v19
	v_add_f16_e32 v55, v55, v56
	s_waitcnt vmcnt(0)
	s_barrier
	v_mul_f16_sdwa v45, v44, v20 dst_sel:DWORD dst_unused:UNUSED_PAD src0_sel:DWORD src1_sel:WORD_1
	v_fma_f16 v45, v29, v20, v45
	v_mul_f16_sdwa v29, v29, v20 dst_sel:DWORD dst_unused:UNUSED_PAD src0_sel:DWORD src1_sel:WORD_1
	v_fma_f16 v20, v44, v20, -v29
	v_add_f16_e32 v44, v50, v17
	v_fma_f16 v44, v44, -0.5, v28
	v_fma_f16 v47, v46, s4, v44
	v_fma_f16 v44, v46, s7, v44
	;; [unrolled: 1-line block ×4, first 2 shown]
	v_add_f16_e32 v29, v28, v52
	v_fma_f16 v47, v53, s6, v47
	v_fma_f16 v44, v53, s6, v44
	v_add_f16_e32 v53, v52, v19
	v_add_f16_e32 v29, v29, v50
	v_fma_f16 v28, v53, -0.5, v28
	v_add_f16_e32 v29, v29, v17
	v_fma_f16 v53, v48, s7, v28
	v_fma_f16 v28, v48, s4, v28
	v_add_f16_e32 v48, v43, v16
	v_add_f16_e32 v29, v29, v19
	v_fma_f16 v48, v48, -0.5, v36
	v_sub_f16_e32 v19, v52, v19
	v_fma_f16 v53, v46, s5, v53
	v_fma_f16 v28, v46, s10, v28
	;; [unrolled: 1-line block ×3, first 2 shown]
	v_sub_f16_e32 v17, v50, v17
	v_fma_f16 v53, v55, s6, v53
	v_fma_f16 v28, v55, s6, v28
	;; [unrolled: 1-line block ×3, first 2 shown]
	v_sub_f16_e32 v52, v41, v43
	v_sub_f16_e32 v55, v14, v16
	v_fma_f16 v48, v19, s4, v48
	v_add_f16_e32 v52, v52, v55
	v_fma_f16 v48, v17, s5, v48
	v_add_f16_e32 v46, v36, v41
	v_fma_f16 v50, v52, s6, v50
	v_fma_f16 v48, v52, s6, v48
	v_add_f16_e32 v52, v41, v14
	v_add_f16_e32 v46, v46, v43
	v_fma_f16 v36, v52, -0.5, v36
	v_add_f16_e32 v46, v46, v16
	v_fma_f16 v52, v17, s4, v36
	v_fma_f16 v17, v17, s7, v36
	v_add_f16_e32 v46, v46, v14
	v_fma_f16 v52, v19, s10, v52
	v_sub_f16_e32 v41, v43, v41
	v_sub_f16_e32 v14, v16, v14
	v_fma_f16 v17, v19, s5, v17
	v_add_f16_e32 v19, v49, v18
	v_add_f16_e32 v14, v41, v14
	v_fma_f16 v19, v19, -0.5, v54
	v_sub_f16_e32 v36, v42, v20
	v_fma_f16 v16, v14, s6, v52
	v_fma_f16 v41, v36, s4, v19
	v_sub_f16_e32 v43, v15, v13
	v_sub_f16_e32 v52, v51, v49
	;; [unrolled: 1-line block ×3, first 2 shown]
	v_fma_f16 v19, v36, s7, v19
	v_fma_f16 v41, v43, s5, v41
	v_add_f16_e32 v52, v52, v55
	v_fma_f16 v19, v43, s10, v19
	v_fma_f16 v14, v14, s6, v17
	v_add_f16_e32 v17, v54, v51
	;; [unrolled: 3-line block ×3, first 2 shown]
	v_add_f16_e32 v17, v17, v49
	v_fma_f16 v52, v52, -0.5, v54
	v_add_f16_e32 v17, v17, v18
	v_fma_f16 v54, v43, s7, v52
	v_fma_f16 v43, v43, s4, v52
	v_add_f16_e32 v52, v15, v13
	v_add_f16_e32 v17, v17, v45
	v_sub_f16_e32 v55, v49, v51
	v_sub_f16_e32 v56, v18, v45
	v_fma_f16 v52, v52, -0.5, v40
	v_sub_f16_e32 v45, v51, v45
	v_fma_f16 v54, v36, s5, v54
	v_add_f16_e32 v55, v55, v56
	v_fma_f16 v36, v36, s10, v43
	v_fma_f16 v51, v45, s7, v52
	v_sub_f16_e32 v18, v49, v18
	v_fma_f16 v54, v55, s6, v54
	v_fma_f16 v36, v55, s6, v36
	;; [unrolled: 1-line block ×3, first 2 shown]
	v_sub_f16_e32 v51, v42, v15
	v_sub_f16_e32 v55, v20, v13
	v_fma_f16 v52, v45, s4, v52
	v_add_f16_e32 v51, v51, v55
	v_fma_f16 v52, v18, s5, v52
	v_add_f16_e32 v43, v40, v42
	v_fma_f16 v49, v51, s6, v49
	v_fma_f16 v51, v51, s6, v52
	v_add_f16_e32 v52, v42, v20
	v_add_f16_e32 v43, v43, v15
	v_fma_f16 v40, v52, -0.5, v40
	v_add_f16_e32 v43, v43, v13
	v_fma_f16 v52, v18, s4, v40
	v_sub_f16_e32 v15, v15, v42
	v_sub_f16_e32 v13, v13, v20
	v_fma_f16 v18, v18, s7, v40
	v_fma_f16 v52, v45, s10, v52
	v_add_f16_e32 v13, v15, v13
	v_fma_f16 v18, v45, s5, v18
	v_add_f16_e32 v43, v43, v20
	v_fma_f16 v15, v13, s6, v52
	v_fma_f16 v13, v13, s6, v18
	v_mul_f16_e32 v20, 0xb8b4, v49
	v_mul_f16_e32 v49, 0x3a79, v49
	v_fma_f16 v20, v41, s11, v20
	v_mul_f16_e32 v42, 0xbb9c, v15
	v_mul_f16_e32 v52, 0xbb9c, v13
	v_fma_f16 v41, v41, s10, v49
	v_mul_f16_e32 v15, 0x34f2, v15
	v_mul_f16_e32 v13, 0xb4f2, v13
	v_add_f16_e32 v18, v29, v17
	v_add_f16_e32 v40, v47, v20
	v_fma_f16 v42, v54, s6, v42
	v_fma_f16 v52, v36, s14, v52
	v_mul_f16_e32 v56, 0xb8b4, v51
	v_add_f16_e32 v58, v46, v43
	v_add_f16_e32 v49, v50, v41
	v_fma_f16 v15, v54, s7, v15
	v_fma_f16 v13, v36, s7, v13
	v_mul_f16_e32 v51, 0xba79, v51
	v_add_f16_e32 v45, v53, v42
	v_add_f16_e32 v55, v28, v52
	v_fma_f16 v56, v19, s15, v56
	v_add_f16_e32 v54, v16, v15
	v_add_f16_e32 v36, v14, v13
	v_fma_f16 v19, v19, s10, v51
	v_sub_f16_e32 v15, v16, v15
	v_pack_b32_f16 v16, v18, v58
	v_pack_b32_f16 v18, v40, v49
	v_add_f16_e32 v57, v44, v56
	v_add_f16_e32 v51, v48, v19
	v_sub_f16_e32 v17, v29, v17
	v_sub_f16_e32 v43, v46, v43
	;; [unrolled: 1-line block ×4, first 2 shown]
	ds_write2_b32 v1, v16, v18 offset1:160
	v_pack_b32_f16 v16, v45, v54
	v_pack_b32_f16 v18, v55, v36
	v_add_u32_e32 v19, 0x400, v1
	v_sub_f16_e32 v20, v47, v20
	v_sub_f16_e32 v29, v53, v42
	;; [unrolled: 1-line block ×3, first 2 shown]
	ds_write2_b32 v19, v16, v18 offset0:64 offset1:224
	v_pack_b32_f16 v16, v57, v51
	v_pack_b32_f16 v17, v17, v43
	v_add_u32_e32 v18, 0xa00, v1
	v_sub_f16_e32 v28, v28, v52
	v_sub_f16_e32 v42, v44, v56
	ds_write2_b32 v18, v16, v17 offset1:160
	v_pack_b32_f16 v16, v20, v41
	v_pack_b32_f16 v15, v29, v15
	ds_write2_b32 v21, v16, v15 offset0:64 offset1:224
	v_pack_b32_f16 v13, v28, v13
	v_pack_b32_f16 v14, v42, v14
	v_add_u32_e32 v15, 0x1400, v1
	ds_write2_b32 v15, v13, v14 offset1:160
	s_and_saveexec_b64 s[2:3], vcc
	s_cbranch_execz .LBB0_19
; %bb.18:
	v_subrev_u32_e32 v13, 60, v0
	v_cndmask_b32_e32 v13, v13, v4, vcc
	v_mul_i32_i24_e32 v13, 9, v13
	v_mov_b32_e32 v14, 0
	v_lshlrev_b64 v[13:14], 2, v[13:14]
	v_mov_b32_e32 v15, s9
	v_add_co_u32_e32 v28, vcc, s8, v13
	v_addc_co_u32_e32 v29, vcc, v15, v14, vcc
	global_load_dwordx4 v[13:16], v[28:29], off offset:600
	global_load_dwordx4 v[17:20], v[28:29], off offset:616
	global_load_dword v21, v[28:29], off offset:632
	s_waitcnt vmcnt(2)
	v_mul_f16_sdwa v28, v10, v14 dst_sel:DWORD dst_unused:UNUSED_PAD src0_sel:DWORD src1_sel:WORD_1
	v_mul_f16_sdwa v29, v12, v16 dst_sel:DWORD dst_unused:UNUSED_PAD src0_sel:DWORD src1_sel:WORD_1
	s_waitcnt vmcnt(1)
	v_mul_f16_sdwa v36, v6, v20 dst_sel:DWORD dst_unused:UNUSED_PAD src0_sel:DWORD src1_sel:WORD_1
	v_mul_f16_sdwa v40, v8, v18 dst_sel:DWORD dst_unused:UNUSED_PAD src0_sel:DWORD src1_sel:WORD_1
	;; [unrolled: 1-line block ×8, first 2 shown]
	s_waitcnt vmcnt(0)
	v_mul_f16_sdwa v47, v30, v21 dst_sel:DWORD dst_unused:UNUSED_PAD src0_sel:DWORD src1_sel:WORD_1
	v_mul_f16_sdwa v48, v24, v19 dst_sel:DWORD dst_unused:UNUSED_PAD src0_sel:DWORD src1_sel:WORD_1
	v_mul_f16_sdwa v50, v11, v15 dst_sel:DWORD dst_unused:UNUSED_PAD src0_sel:DWORD src1_sel:WORD_1
	v_mul_f16_sdwa v51, v22, v21 dst_sel:DWORD dst_unused:UNUSED_PAD src0_sel:DWORD src1_sel:WORD_1
	v_mul_f16_sdwa v52, v7, v17 dst_sel:DWORD dst_unused:UNUSED_PAD src0_sel:DWORD src1_sel:WORD_1
	v_mul_f16_sdwa v53, v5, v19 dst_sel:DWORD dst_unused:UNUSED_PAD src0_sel:DWORD src1_sel:WORD_1
	v_fma_f16 v28, v37, v14, -v28
	v_fma_f16 v29, v39, v16, -v29
	;; [unrolled: 1-line block ×4, first 2 shown]
	v_mul_f16_sdwa v49, v34, v13 dst_sel:DWORD dst_unused:UNUSED_PAD src0_sel:DWORD src1_sel:WORD_1
	v_mul_f16_sdwa v54, v9, v13 dst_sel:DWORD dst_unused:UNUSED_PAD src0_sel:DWORD src1_sel:WORD_1
	v_fma_f16 v10, v10, v14, v41
	v_fma_f16 v6, v6, v20, v42
	;; [unrolled: 1-line block ×8, first 2 shown]
	v_fma_f16 v15, v35, v15, -v50
	v_fma_f16 v16, v30, v21, -v51
	;; [unrolled: 1-line block ×4, first 2 shown]
	v_sub_f16_e32 v19, v28, v29
	v_sub_f16_e32 v20, v32, v31
	v_add_f16_e32 v21, v29, v31
	v_fma_f16 v9, v9, v13, v49
	v_fma_f16 v13, v34, v13, -v54
	v_sub_f16_e32 v22, v10, v6
	v_sub_f16_e32 v30, v11, v7
	;; [unrolled: 1-line block ×7, first 2 shown]
	v_add_f16_e32 v19, v19, v20
	v_fma_f16 v20, v21, -0.5, v33
	v_sub_f16_e32 v24, v12, v8
	v_add_f16_e32 v35, v7, v5
	v_add_f16_e32 v21, v30, v34
	;; [unrolled: 1-line block ×4, first 2 shown]
	v_fma_f16 v44, v22, s4, v20
	v_fma_f16 v20, v22, s7, v20
	v_sub_f16_e32 v36, v15, v16
	v_add_f16_e32 v45, v28, v32
	v_fma_f16 v30, v35, -0.5, v9
	v_fma_f16 v44, v24, s5, v44
	v_fma_f16 v20, v24, s10, v20
	v_sub_f16_e32 v37, v17, v18
	v_add_f16_e32 v40, v17, v18
	v_fma_f16 v39, v45, -0.5, v33
	v_fma_f16 v45, v36, s7, v30
	v_fma_f16 v44, v19, s6, v44
	v_sub_f16_e32 v51, v17, v15
	v_sub_f16_e32 v52, v18, v16
	v_fma_f16 v19, v19, s6, v20
	v_fma_f16 v20, v36, s4, v30
	v_sub_f16_e32 v41, v11, v14
	v_sub_f16_e32 v46, v7, v11
	v_sub_f16_e32 v47, v5, v14
	v_fma_f16 v35, v40, -0.5, v13
	v_fma_f16 v45, v37, s10, v45
	v_add_f16_e32 v51, v51, v52
	v_add_f16_e32 v52, v15, v16
	v_fma_f16 v20, v37, s5, v20
	v_sub_f16_e32 v42, v7, v5
	v_add_f16_e32 v40, v46, v47
	v_fma_f16 v46, v41, s4, v35
	v_fma_f16 v45, v21, s6, v45
	v_fma_f16 v52, v52, -0.5, v13
	v_fma_f16 v20, v21, s6, v20
	v_fma_f16 v21, v41, s7, v35
	v_add_f16_e32 v13, v13, v15
	v_fma_f16 v46, v42, s5, v46
	v_fma_f16 v21, v42, s10, v21
	v_add_f16_e32 v13, v13, v17
	v_add_f16_e32 v48, v11, v14
	v_fma_f16 v47, v24, s7, v39
	v_fma_f16 v46, v34, s6, v46
	;; [unrolled: 1-line block ×4, first 2 shown]
	v_add_f16_e32 v30, v33, v28
	v_add_f16_e32 v13, v13, v18
	v_sub_f16_e32 v33, v12, v10
	v_sub_f16_e32 v34, v8, v6
	v_fma_f16 v43, v48, -0.5, v9
	v_fma_f16 v47, v22, s5, v47
	v_fma_f16 v39, v22, s10, v39
	v_add_f16_e32 v13, v13, v16
	v_sub_f16_e32 v16, v10, v12
	v_sub_f16_e32 v17, v6, v8
	v_add_f16_e32 v33, v33, v34
	v_add_f16_e32 v34, v10, v6
	v_add_f16_e32 v10, v23, v10
	v_fma_f16 v48, v37, s4, v43
	v_fma_f16 v47, v38, s6, v47
	;; [unrolled: 1-line block ×4, first 2 shown]
	v_add_f16_e32 v16, v16, v17
	v_add_f16_e32 v17, v12, v8
	;; [unrolled: 1-line block ×3, first 2 shown]
	v_fma_f16 v48, v36, s10, v48
	v_fma_f16 v39, v36, s5, v39
	v_fma_f16 v17, v17, -0.5, v23
	v_sub_f16_e32 v18, v28, v32
	v_add_f16_e32 v8, v10, v8
	v_fma_f16 v48, v40, s6, v48
	v_fma_f16 v53, v42, s7, v52
	;; [unrolled: 1-line block ×4, first 2 shown]
	v_add_f16_e32 v30, v30, v29
	v_fma_f16 v28, v18, s7, v17
	v_sub_f16_e32 v29, v29, v31
	v_fma_f16 v34, v34, -0.5, v23
	v_fma_f16 v17, v18, s4, v17
	v_add_f16_e32 v6, v8, v6
	v_add_f16_e32 v8, v9, v11
	v_fma_f16 v53, v41, s5, v53
	v_fma_f16 v40, v41, s10, v40
	;; [unrolled: 1-line block ×6, first 2 shown]
	v_add_f16_e32 v7, v8, v7
	v_fma_f16 v53, v51, s6, v53
	v_fma_f16 v40, v51, s6, v40
	v_mul_f16_e32 v22, 0x3a79, v21
	v_add_f16_e32 v30, v30, v31
	v_fma_f16 v28, v16, s6, v28
	v_fma_f16 v35, v18, s10, v35
	;; [unrolled: 1-line block ×4, first 2 shown]
	v_mul_f16_e32 v17, 0xb8b4, v21
	v_add_f16_e32 v5, v7, v5
	v_mul_f16_e32 v54, 0xb4f2, v53
	v_mul_f16_e32 v43, 0x34f2, v40
	v_fma_f16 v22, v20, s10, v22
	v_add_f16_e32 v30, v30, v32
	v_fma_f16 v35, v33, s6, v35
	v_mul_f16_e32 v36, 0xbb9c, v53
	v_fma_f16 v33, v33, s6, v34
	v_mul_f16_e32 v34, 0xbb9c, v40
	v_fma_f16 v17, v20, s11, v17
	v_add_f16_e32 v5, v5, v14
	v_mul_f16_e32 v49, 0xba79, v46
	v_fma_f16 v54, v48, s7, v54
	v_fma_f16 v43, v39, s7, v43
	v_mul_f16_e32 v31, 0xb8b4, v46
	v_fma_f16 v36, v48, s14, v36
	v_fma_f16 v34, v39, s6, v34
	v_sub_f16_e32 v18, v16, v17
	v_sub_f16_e32 v7, v6, v5
	v_add_f16_e32 v11, v19, v22
	v_add_f16_e32 v12, v30, v13
	;; [unrolled: 1-line block ×4, first 2 shown]
	v_fma_f16 v49, v45, s10, v49
	v_sub_f16_e32 v24, v19, v22
	v_fma_f16 v31, v45, s15, v31
	v_add_f16_e32 v9, v47, v54
	v_add_f16_e32 v10, v38, v43
	v_add_f16_e32 v14, v35, v36
	v_add_f16_e32 v19, v33, v34
	v_pack_b32_f16 v5, v5, v12
	v_pack_b32_f16 v6, v16, v11
	v_add_u32_e32 v11, 0x100, v1
	v_sub_f16_e32 v15, v30, v13
	v_add_f16_e32 v8, v44, v49
	v_add_f16_e32 v13, v28, v31
	ds_write2_b32 v11, v5, v6 offset0:36 offset1:196
	v_pack_b32_f16 v5, v19, v10
	v_pack_b32_f16 v6, v14, v9
	v_add_u32_e32 v9, 0x600, v1
	v_sub_f16_e32 v51, v38, v43
	v_sub_f16_e32 v39, v33, v34
	ds_write2_b32 v9, v5, v6 offset0:36 offset1:196
	v_pack_b32_f16 v5, v13, v8
	v_pack_b32_f16 v6, v7, v15
	v_add_u32_e32 v7, 0xb00, v1
	v_sub_f16_e32 v50, v44, v49
	v_sub_f16_e32 v55, v47, v54
	;; [unrolled: 1-line block ×4, first 2 shown]
	ds_write2_b32 v7, v5, v6 offset0:36 offset1:196
	v_pack_b32_f16 v5, v18, v24
	v_pack_b32_f16 v6, v39, v51
	v_add_u32_e32 v7, 0x1000, v1
	ds_write2_b32 v7, v5, v6 offset0:36 offset1:196
	v_pack_b32_f16 v5, v37, v55
	v_pack_b32_f16 v6, v32, v50
	v_add_u32_e32 v1, 0x1500, v1
	ds_write2_b32 v1, v5, v6 offset0:36 offset1:196
.LBB0_19:
	s_or_b64 exec, exec, s[2:3]
	s_waitcnt lgkmcnt(0)
	s_barrier
	ds_read_b32 v5, v25
	s_add_u32 s4, s8, 0x18d8
	s_addc_u32 s5, s9, 0
	v_sub_u32_e32 v8, v27, v26
	v_cmp_ne_u32_e32 vcc, 0, v0
                                        ; implicit-def: $vgpr10
                                        ; implicit-def: $vgpr9
                                        ; implicit-def: $vgpr11
                                        ; implicit-def: $vgpr6_vgpr7
	s_and_saveexec_b64 s[2:3], vcc
	s_xor_b64 s[2:3], exec, s[2:3]
	s_cbranch_execz .LBB0_21
; %bb.20:
	v_mov_b32_e32 v1, 0
	v_lshlrev_b64 v[6:7], 2, v[0:1]
	v_mov_b32_e32 v9, s5
	v_add_co_u32_e32 v6, vcc, s4, v6
	v_addc_co_u32_e32 v7, vcc, v9, v7, vcc
	global_load_dword v6, v[6:7], off
	ds_read_b32 v7, v8 offset:6400
	s_mov_b32 s6, 0xffff
	s_waitcnt lgkmcnt(0)
	v_pk_add_f16 v9, v5, v7 neg_lo:[0,1] neg_hi:[0,1]
	v_pk_add_f16 v5, v7, v5
	v_bfi_b32 v7, s6, v9, v5
	v_bfi_b32 v5, s6, v5, v9
	v_pk_mul_f16 v7, v7, 0.5 op_sel_hi:[1,0]
	v_pk_mul_f16 v9, v5, 0.5 op_sel_hi:[1,0]
	s_waitcnt vmcnt(0)
	v_pk_mul_f16 v10, v6, v7 op_sel:[1,0]
	v_pk_mul_f16 v6, v6, v7 op_sel_hi:[0,1]
	v_pk_fma_f16 v5, v5, 0.5, v10 op_sel_hi:[1,0,1]
	v_sub_f16_e32 v7, v9, v10
	v_sub_f16_sdwa v10, v10, v9 dst_sel:DWORD dst_unused:UNUSED_PAD src0_sel:WORD_1 src1_sel:WORD_1
	v_pk_add_f16 v12, v5, v6 op_sel:[0,1] op_sel_hi:[1,0]
	v_pk_add_f16 v5, v5, v6 op_sel:[0,1] op_sel_hi:[1,0] neg_lo:[0,1] neg_hi:[0,1]
	v_sub_f16_sdwa v9, v7, v6 dst_sel:DWORD dst_unused:UNUSED_PAD src0_sel:DWORD src1_sel:WORD_1
	v_sub_f16_e32 v11, v10, v6
	v_mov_b32_e32 v7, v1
	v_bfi_b32 v10, s6, v12, v5
	v_mov_b32_e32 v6, v0
                                        ; implicit-def: $vgpr5
.LBB0_21:
	s_andn2_saveexec_b64 s[2:3], s[2:3]
	s_cbranch_execz .LBB0_23
; %bb.22:
	ds_read_u16 v1, v27 offset:3202
	s_waitcnt lgkmcnt(1)
	v_alignbit_b32 v6, s0, v5, 16
	v_sub_f16_sdwa v9, v5, v5 dst_sel:DWORD dst_unused:UNUSED_PAD src0_sel:DWORD src1_sel:WORD_1
	v_pk_add_f16 v5, v6, v5
	v_mov_b32_e32 v6, 0
	v_pack_b32_f16 v10, v5, 0
	s_waitcnt lgkmcnt(0)
	v_xor_b32_e32 v1, 0x8000, v1
	v_mov_b32_e32 v7, 0
	v_mov_b32_e32 v11, 0
	ds_write_b16 v27, v1 offset:3202
.LBB0_23:
	s_or_b64 exec, exec, s[2:3]
	s_waitcnt lgkmcnt(0)
	v_mov_b32_e32 v5, 0
	v_lshlrev_b64 v[12:13], 2, v[4:5]
	v_mov_b32_e32 v1, s5
	v_add_co_u32_e32 v12, vcc, s4, v12
	v_addc_co_u32_e32 v13, vcc, v1, v13, vcc
	global_load_dword v1, v[12:13], off
	v_lshlrev_b64 v[5:6], 2, v[6:7]
	v_mov_b32_e32 v7, s5
	v_add_co_u32_e32 v12, vcc, s4, v5
	v_addc_co_u32_e32 v13, vcc, v7, v6, vcc
	global_load_dword v7, v[12:13], off offset:800
	global_load_dword v14, v[12:13], off offset:1200
	ds_write_b16 v8, v11 offset:6402
	ds_write_b32 v25, v10
	ds_write_b16 v8, v9 offset:6400
	v_lshl_add_u32 v4, v4, 2, v27
	ds_read_b32 v9, v4
	ds_read_b32 v10, v8 offset:6000
	global_load_dword v11, v[12:13], off offset:1600
	global_load_dword v15, v[12:13], off offset:2000
	;; [unrolled: 1-line block ×4, first 2 shown]
	s_mov_b32 s2, 0xffff
	s_waitcnt lgkmcnt(0)
	v_pk_add_f16 v12, v9, v10 neg_lo:[0,1] neg_hi:[0,1]
	v_pk_add_f16 v9, v9, v10
	v_bfi_b32 v10, s2, v12, v9
	v_bfi_b32 v9, s2, v9, v12
	v_pk_mul_f16 v10, v10, 0.5 op_sel_hi:[1,0]
	v_pk_mul_f16 v9, v9, 0.5 op_sel_hi:[1,0]
	s_waitcnt vmcnt(6)
	v_pk_fma_f16 v12, v1, v10, v9 op_sel:[1,0,0]
	v_pk_mul_f16 v13, v1, v10 op_sel_hi:[0,1]
	v_pk_fma_f16 v18, v1, v10, v9 op_sel:[1,0,0] neg_lo:[1,0,0] neg_hi:[1,0,0]
	v_pk_fma_f16 v1, v1, v10, v9 op_sel:[1,0,0] neg_lo:[0,0,1] neg_hi:[0,0,1]
	v_pk_add_f16 v9, v12, v13 op_sel:[0,1] op_sel_hi:[1,0]
	v_pk_add_f16 v10, v12, v13 op_sel:[0,1] op_sel_hi:[1,0] neg_lo:[0,1] neg_hi:[0,1]
	v_pk_add_f16 v12, v18, v13 op_sel:[0,1] op_sel_hi:[1,0] neg_lo:[0,1] neg_hi:[0,1]
	;; [unrolled: 1-line block ×3, first 2 shown]
	v_bfi_b32 v9, s2, v9, v10
	v_bfi_b32 v1, s2, v12, v1
	ds_write_b32 v4, v9
	ds_write_b32 v8, v1 offset:6000
	ds_read_b32 v1, v25 offset:800
	ds_read_b32 v4, v8 offset:5600
	s_waitcnt lgkmcnt(0)
	v_pk_add_f16 v9, v1, v4 neg_lo:[0,1] neg_hi:[0,1]
	v_pk_add_f16 v1, v1, v4
	v_bfi_b32 v4, s2, v9, v1
	v_bfi_b32 v1, s2, v1, v9
	v_pk_mul_f16 v4, v4, 0.5 op_sel_hi:[1,0]
	v_pk_mul_f16 v9, v1, 0.5 op_sel_hi:[1,0]
	s_waitcnt vmcnt(5)
	v_pk_mul_f16 v10, v7, v4 op_sel:[1,0]
	v_pk_mul_f16 v4, v7, v4 op_sel_hi:[0,1]
	v_pk_fma_f16 v1, v1, 0.5, v10 op_sel_hi:[1,0,1]
	v_sub_f16_e32 v7, v9, v10
	v_sub_f16_sdwa v9, v10, v9 dst_sel:DWORD dst_unused:UNUSED_PAD src0_sel:WORD_1 src1_sel:WORD_1
	v_pk_add_f16 v10, v1, v4 op_sel:[0,1] op_sel_hi:[1,0]
	v_pk_add_f16 v1, v1, v4 op_sel:[0,1] op_sel_hi:[1,0] neg_lo:[0,1] neg_hi:[0,1]
	v_sub_f16_sdwa v7, v7, v4 dst_sel:DWORD dst_unused:UNUSED_PAD src0_sel:DWORD src1_sel:WORD_1
	v_sub_f16_e32 v4, v9, v4
	v_bfi_b32 v1, s2, v10, v1
	ds_write_b16 v8, v4 offset:5602
	ds_write_b32 v25, v1 offset:800
	ds_write_b16 v8, v7 offset:5600
	ds_read_b32 v1, v25 offset:1200
	ds_read_b32 v4, v8 offset:5200
	s_waitcnt lgkmcnt(0)
	v_pk_add_f16 v7, v1, v4 neg_lo:[0,1] neg_hi:[0,1]
	v_pk_add_f16 v1, v1, v4
	v_bfi_b32 v4, s2, v7, v1
	v_bfi_b32 v1, s2, v1, v7
	v_pk_mul_f16 v4, v4, 0.5 op_sel_hi:[1,0]
	v_pk_mul_f16 v7, v1, 0.5 op_sel_hi:[1,0]
	s_waitcnt vmcnt(4)
	v_pk_mul_f16 v9, v14, v4 op_sel:[1,0]
	v_pk_mul_f16 v4, v14, v4 op_sel_hi:[0,1]
	v_pk_fma_f16 v1, v1, 0.5, v9 op_sel_hi:[1,0,1]
	v_sub_f16_e32 v10, v7, v9
	v_sub_f16_sdwa v7, v9, v7 dst_sel:DWORD dst_unused:UNUSED_PAD src0_sel:WORD_1 src1_sel:WORD_1
	v_pk_add_f16 v9, v1, v4 op_sel:[0,1] op_sel_hi:[1,0]
	v_pk_add_f16 v1, v1, v4 op_sel:[0,1] op_sel_hi:[1,0] neg_lo:[0,1] neg_hi:[0,1]
	v_sub_f16_sdwa v10, v10, v4 dst_sel:DWORD dst_unused:UNUSED_PAD src0_sel:DWORD src1_sel:WORD_1
	v_sub_f16_e32 v4, v7, v4
	v_bfi_b32 v1, s2, v9, v1
	ds_write_b16 v8, v4 offset:5202
	ds_write_b32 v25, v1 offset:1200
	ds_write_b16 v8, v10 offset:5200
	ds_read_b32 v1, v25 offset:1600
	ds_read_b32 v4, v8 offset:4800
	s_waitcnt lgkmcnt(0)
	v_pk_add_f16 v7, v1, v4 neg_lo:[0,1] neg_hi:[0,1]
	v_pk_add_f16 v1, v1, v4
	v_bfi_b32 v4, s2, v7, v1
	v_bfi_b32 v1, s2, v1, v7
	v_pk_mul_f16 v4, v4, 0.5 op_sel_hi:[1,0]
	v_pk_mul_f16 v7, v1, 0.5 op_sel_hi:[1,0]
	s_waitcnt vmcnt(3)
	v_pk_mul_f16 v9, v11, v4 op_sel:[1,0]
	v_pk_mul_f16 v4, v11, v4 op_sel_hi:[0,1]
	v_pk_fma_f16 v1, v1, 0.5, v9 op_sel_hi:[1,0,1]
	v_sub_f16_e32 v10, v7, v9
	v_sub_f16_sdwa v7, v9, v7 dst_sel:DWORD dst_unused:UNUSED_PAD src0_sel:WORD_1 src1_sel:WORD_1
	v_pk_add_f16 v9, v1, v4 op_sel:[0,1] op_sel_hi:[1,0]
	v_pk_add_f16 v1, v1, v4 op_sel:[0,1] op_sel_hi:[1,0] neg_lo:[0,1] neg_hi:[0,1]
	v_sub_f16_sdwa v10, v10, v4 dst_sel:DWORD dst_unused:UNUSED_PAD src0_sel:DWORD src1_sel:WORD_1
	v_sub_f16_e32 v4, v7, v4
	v_bfi_b32 v1, s2, v9, v1
	ds_write_b16 v8, v4 offset:4802
	ds_write_b32 v25, v1 offset:1600
	ds_write_b16 v8, v10 offset:4800
	ds_read_b32 v1, v25 offset:2000
	ds_read_b32 v4, v8 offset:4400
	s_waitcnt lgkmcnt(0)
	v_pk_add_f16 v7, v1, v4 neg_lo:[0,1] neg_hi:[0,1]
	v_pk_add_f16 v1, v1, v4
	v_bfi_b32 v4, s2, v7, v1
	v_bfi_b32 v1, s2, v1, v7
	v_pk_mul_f16 v4, v4, 0.5 op_sel_hi:[1,0]
	v_pk_mul_f16 v1, v1, 0.5 op_sel_hi:[1,0]
	s_waitcnt vmcnt(2)
	v_pk_fma_f16 v7, v15, v4, v1 op_sel:[1,0,0]
	v_pk_mul_f16 v9, v15, v4 op_sel_hi:[0,1]
	v_pk_fma_f16 v10, v15, v4, v1 op_sel:[1,0,0] neg_lo:[1,0,0] neg_hi:[1,0,0]
	v_pk_fma_f16 v1, v15, v4, v1 op_sel:[1,0,0] neg_lo:[0,0,1] neg_hi:[0,0,1]
	v_pk_add_f16 v4, v7, v9 op_sel:[0,1] op_sel_hi:[1,0]
	v_pk_add_f16 v7, v7, v9 op_sel:[0,1] op_sel_hi:[1,0] neg_lo:[0,1] neg_hi:[0,1]
	v_pk_add_f16 v10, v10, v9 op_sel:[0,1] op_sel_hi:[1,0] neg_lo:[0,1] neg_hi:[0,1]
	;; [unrolled: 1-line block ×3, first 2 shown]
	v_bfi_b32 v4, s2, v4, v7
	v_bfi_b32 v1, s2, v10, v1
	ds_write_b32 v25, v4 offset:2000
	ds_write_b32 v8, v1 offset:4400
	ds_read_b32 v1, v25 offset:2400
	ds_read_b32 v4, v8 offset:4000
	s_waitcnt lgkmcnt(0)
	v_pk_add_f16 v7, v1, v4 neg_lo:[0,1] neg_hi:[0,1]
	v_pk_add_f16 v1, v1, v4
	v_bfi_b32 v4, s2, v7, v1
	v_bfi_b32 v1, s2, v1, v7
	v_pk_mul_f16 v4, v4, 0.5 op_sel_hi:[1,0]
	v_pk_mul_f16 v7, v1, 0.5 op_sel_hi:[1,0]
	s_waitcnt vmcnt(1)
	v_pk_mul_f16 v9, v16, v4 op_sel:[1,0]
	v_pk_mul_f16 v4, v16, v4 op_sel_hi:[0,1]
	v_pk_fma_f16 v1, v1, 0.5, v9 op_sel_hi:[1,0,1]
	v_sub_f16_e32 v10, v7, v9
	v_sub_f16_sdwa v7, v9, v7 dst_sel:DWORD dst_unused:UNUSED_PAD src0_sel:WORD_1 src1_sel:WORD_1
	v_pk_add_f16 v9, v1, v4 op_sel:[0,1] op_sel_hi:[1,0]
	v_pk_add_f16 v1, v1, v4 op_sel:[0,1] op_sel_hi:[1,0] neg_lo:[0,1] neg_hi:[0,1]
	v_sub_f16_sdwa v10, v10, v4 dst_sel:DWORD dst_unused:UNUSED_PAD src0_sel:DWORD src1_sel:WORD_1
	v_sub_f16_e32 v4, v7, v4
	v_bfi_b32 v1, s2, v9, v1
	ds_write_b16 v8, v4 offset:4002
	ds_write_b32 v25, v1 offset:2400
	ds_write_b16 v8, v10 offset:4000
	ds_read_b32 v1, v25 offset:2800
	ds_read_b32 v4, v8 offset:3600
	s_waitcnt lgkmcnt(0)
	v_pk_add_f16 v7, v1, v4 neg_lo:[0,1] neg_hi:[0,1]
	v_pk_add_f16 v1, v1, v4
	v_bfi_b32 v4, s2, v7, v1
	v_bfi_b32 v1, s2, v1, v7
	v_pk_mul_f16 v4, v4, 0.5 op_sel_hi:[1,0]
	v_pk_mul_f16 v1, v1, 0.5 op_sel_hi:[1,0]
	s_waitcnt vmcnt(0)
	v_pk_fma_f16 v7, v17, v4, v1 op_sel:[1,0,0]
	v_pk_mul_f16 v9, v17, v4 op_sel_hi:[0,1]
	v_pk_fma_f16 v10, v17, v4, v1 op_sel:[1,0,0] neg_lo:[1,0,0] neg_hi:[1,0,0]
	v_pk_fma_f16 v1, v17, v4, v1 op_sel:[1,0,0] neg_lo:[0,0,1] neg_hi:[0,0,1]
	v_pk_add_f16 v11, v7, v9 op_sel:[0,1] op_sel_hi:[1,0]
	v_pk_add_f16 v7, v7, v9 op_sel:[0,1] op_sel_hi:[1,0] neg_lo:[0,1] neg_hi:[0,1]
	v_pk_add_f16 v10, v10, v9 op_sel:[0,1] op_sel_hi:[1,0] neg_lo:[0,1] neg_hi:[0,1]
	;; [unrolled: 1-line block ×3, first 2 shown]
	v_bfi_b32 v7, s2, v11, v7
	v_bfi_b32 v1, s2, v10, v1
	ds_write_b32 v25, v7 offset:2800
	ds_write_b32 v8, v1 offset:3600
	s_waitcnt lgkmcnt(0)
	s_barrier
	s_and_saveexec_b64 s[2:3], s[0:1]
	s_cbranch_execz .LBB0_26
; %bb.24:
	v_mov_b32_e32 v1, s13
	v_add_co_u32_e32 v2, vcc, s12, v2
	ds_read2_b32 v[7:8], v25 offset1:100
	v_addc_co_u32_e32 v1, vcc, v1, v3, vcc
	v_add_co_u32_e32 v3, vcc, v2, v5
	v_add_u32_e32 v5, 0x200, v25
	v_addc_co_u32_e32 v4, vcc, v1, v6, vcc
	ds_read2_b32 v[5:6], v5 offset0:72 offset1:172
	v_add_u32_e32 v9, 0x400, v25
	ds_read2_b32 v[9:10], v9 offset0:144 offset1:244
	s_waitcnt lgkmcnt(2)
	global_store_dword v[3:4], v7, off
	global_store_dword v[3:4], v8, off offset:400
	s_waitcnt lgkmcnt(1)
	global_store_dword v[3:4], v5, off offset:800
	global_store_dword v[3:4], v6, off offset:1200
	s_waitcnt lgkmcnt(0)
	global_store_dword v[3:4], v9, off offset:1600
	global_store_dword v[3:4], v10, off offset:2000
	v_add_u32_e32 v5, 0x800, v25
	ds_read2_b32 v[5:6], v5 offset0:88 offset1:188
	v_add_u32_e32 v7, 0xc00, v25
	ds_read2_b32 v[7:8], v7 offset0:32 offset1:132
	;; [unrolled: 2-line block ×3, first 2 shown]
	s_waitcnt lgkmcnt(2)
	global_store_dword v[3:4], v5, off offset:2400
	global_store_dword v[3:4], v6, off offset:2800
	s_waitcnt lgkmcnt(1)
	global_store_dword v[3:4], v7, off offset:3200
	global_store_dword v[3:4], v8, off offset:3600
	s_waitcnt lgkmcnt(0)
	global_store_dword v[3:4], v9, off offset:4000
	v_add_u32_e32 v5, 0x1200, v25
	s_movk_i32 s0, 0x1000
	ds_read2_b32 v[5:6], v5 offset0:48 offset1:148
	v_add_u32_e32 v7, 0x1400, v25
	v_add_co_u32_e32 v3, vcc, s0, v3
	ds_read2_b32 v[7:8], v7 offset0:120 offset1:220
	v_addc_co_u32_e32 v4, vcc, 0, v4, vcc
	s_movk_i32 s0, 0x63
	v_cmp_eq_u32_e32 vcc, s0, v0
	global_store_dword v[3:4], v10, off offset:304
	s_waitcnt lgkmcnt(1)
	global_store_dword v[3:4], v5, off offset:704
	global_store_dword v[3:4], v6, off offset:1104
	s_waitcnt lgkmcnt(0)
	global_store_dword v[3:4], v7, off offset:1504
	global_store_dword v[3:4], v8, off offset:1904
	s_and_b64 exec, exec, vcc
	s_cbranch_execz .LBB0_26
; %bb.25:
	ds_read_b32 v3, v25 offset:6004
	v_add_co_u32_e32 v0, vcc, 0x1000, v2
	v_addc_co_u32_e32 v1, vcc, 0, v1, vcc
	s_waitcnt lgkmcnt(0)
	global_store_dword v[0:1], v3, off offset:2304
.LBB0_26:
	s_endpgm
	.section	.rodata,"a",@progbits
	.p2align	6, 0x0
	.amdhsa_kernel fft_rtc_back_len1600_factors_10_16_10_wgs_200_tpt_100_halfLds_half_ip_CI_unitstride_sbrr_R2C_dirReg
		.amdhsa_group_segment_fixed_size 0
		.amdhsa_private_segment_fixed_size 0
		.amdhsa_kernarg_size 88
		.amdhsa_user_sgpr_count 6
		.amdhsa_user_sgpr_private_segment_buffer 1
		.amdhsa_user_sgpr_dispatch_ptr 0
		.amdhsa_user_sgpr_queue_ptr 0
		.amdhsa_user_sgpr_kernarg_segment_ptr 1
		.amdhsa_user_sgpr_dispatch_id 0
		.amdhsa_user_sgpr_flat_scratch_init 0
		.amdhsa_user_sgpr_private_segment_size 0
		.amdhsa_uses_dynamic_stack 0
		.amdhsa_system_sgpr_private_segment_wavefront_offset 0
		.amdhsa_system_sgpr_workgroup_id_x 1
		.amdhsa_system_sgpr_workgroup_id_y 0
		.amdhsa_system_sgpr_workgroup_id_z 0
		.amdhsa_system_sgpr_workgroup_info 0
		.amdhsa_system_vgpr_workitem_id 0
		.amdhsa_next_free_vgpr 61
		.amdhsa_next_free_sgpr 22
		.amdhsa_reserve_vcc 1
		.amdhsa_reserve_flat_scratch 0
		.amdhsa_float_round_mode_32 0
		.amdhsa_float_round_mode_16_64 0
		.amdhsa_float_denorm_mode_32 3
		.amdhsa_float_denorm_mode_16_64 3
		.amdhsa_dx10_clamp 1
		.amdhsa_ieee_mode 1
		.amdhsa_fp16_overflow 0
		.amdhsa_exception_fp_ieee_invalid_op 0
		.amdhsa_exception_fp_denorm_src 0
		.amdhsa_exception_fp_ieee_div_zero 0
		.amdhsa_exception_fp_ieee_overflow 0
		.amdhsa_exception_fp_ieee_underflow 0
		.amdhsa_exception_fp_ieee_inexact 0
		.amdhsa_exception_int_div_zero 0
	.end_amdhsa_kernel
	.text
.Lfunc_end0:
	.size	fft_rtc_back_len1600_factors_10_16_10_wgs_200_tpt_100_halfLds_half_ip_CI_unitstride_sbrr_R2C_dirReg, .Lfunc_end0-fft_rtc_back_len1600_factors_10_16_10_wgs_200_tpt_100_halfLds_half_ip_CI_unitstride_sbrr_R2C_dirReg
                                        ; -- End function
	.section	.AMDGPU.csdata,"",@progbits
; Kernel info:
; codeLenInByte = 11088
; NumSgprs: 26
; NumVgprs: 61
; ScratchSize: 0
; MemoryBound: 0
; FloatMode: 240
; IeeeMode: 1
; LDSByteSize: 0 bytes/workgroup (compile time only)
; SGPRBlocks: 3
; VGPRBlocks: 15
; NumSGPRsForWavesPerEU: 26
; NumVGPRsForWavesPerEU: 61
; Occupancy: 4
; WaveLimiterHint : 1
; COMPUTE_PGM_RSRC2:SCRATCH_EN: 0
; COMPUTE_PGM_RSRC2:USER_SGPR: 6
; COMPUTE_PGM_RSRC2:TRAP_HANDLER: 0
; COMPUTE_PGM_RSRC2:TGID_X_EN: 1
; COMPUTE_PGM_RSRC2:TGID_Y_EN: 0
; COMPUTE_PGM_RSRC2:TGID_Z_EN: 0
; COMPUTE_PGM_RSRC2:TIDIG_COMP_CNT: 0
	.type	__hip_cuid_b4cdbc40a81a60d6,@object ; @__hip_cuid_b4cdbc40a81a60d6
	.section	.bss,"aw",@nobits
	.globl	__hip_cuid_b4cdbc40a81a60d6
__hip_cuid_b4cdbc40a81a60d6:
	.byte	0                               ; 0x0
	.size	__hip_cuid_b4cdbc40a81a60d6, 1

	.ident	"AMD clang version 19.0.0git (https://github.com/RadeonOpenCompute/llvm-project roc-6.4.0 25133 c7fe45cf4b819c5991fe208aaa96edf142730f1d)"
	.section	".note.GNU-stack","",@progbits
	.addrsig
	.addrsig_sym __hip_cuid_b4cdbc40a81a60d6
	.amdgpu_metadata
---
amdhsa.kernels:
  - .args:
      - .actual_access:  read_only
        .address_space:  global
        .offset:         0
        .size:           8
        .value_kind:     global_buffer
      - .offset:         8
        .size:           8
        .value_kind:     by_value
      - .actual_access:  read_only
        .address_space:  global
        .offset:         16
        .size:           8
        .value_kind:     global_buffer
      - .actual_access:  read_only
        .address_space:  global
        .offset:         24
        .size:           8
        .value_kind:     global_buffer
      - .offset:         32
        .size:           8
        .value_kind:     by_value
      - .actual_access:  read_only
        .address_space:  global
        .offset:         40
        .size:           8
        .value_kind:     global_buffer
      - .actual_access:  read_only
        .address_space:  global
        .offset:         48
        .size:           8
        .value_kind:     global_buffer
      - .offset:         56
        .size:           4
        .value_kind:     by_value
      - .actual_access:  read_only
        .address_space:  global
        .offset:         64
        .size:           8
        .value_kind:     global_buffer
      - .actual_access:  read_only
        .address_space:  global
        .offset:         72
        .size:           8
        .value_kind:     global_buffer
      - .address_space:  global
        .offset:         80
        .size:           8
        .value_kind:     global_buffer
    .group_segment_fixed_size: 0
    .kernarg_segment_align: 8
    .kernarg_segment_size: 88
    .language:       OpenCL C
    .language_version:
      - 2
      - 0
    .max_flat_workgroup_size: 200
    .name:           fft_rtc_back_len1600_factors_10_16_10_wgs_200_tpt_100_halfLds_half_ip_CI_unitstride_sbrr_R2C_dirReg
    .private_segment_fixed_size: 0
    .sgpr_count:     26
    .sgpr_spill_count: 0
    .symbol:         fft_rtc_back_len1600_factors_10_16_10_wgs_200_tpt_100_halfLds_half_ip_CI_unitstride_sbrr_R2C_dirReg.kd
    .uniform_work_group_size: 1
    .uses_dynamic_stack: false
    .vgpr_count:     61
    .vgpr_spill_count: 0
    .wavefront_size: 64
amdhsa.target:   amdgcn-amd-amdhsa--gfx906
amdhsa.version:
  - 1
  - 2
...

	.end_amdgpu_metadata
